;; amdgpu-corpus repo=ROCm/rocFFT kind=compiled arch=gfx906 opt=O3
	.text
	.amdgcn_target "amdgcn-amd-amdhsa--gfx906"
	.amdhsa_code_object_version 6
	.protected	bluestein_single_back_len840_dim1_half_op_CI_CI ; -- Begin function bluestein_single_back_len840_dim1_half_op_CI_CI
	.globl	bluestein_single_back_len840_dim1_half_op_CI_CI
	.p2align	8
	.type	bluestein_single_back_len840_dim1_half_op_CI_CI,@function
bluestein_single_back_len840_dim1_half_op_CI_CI: ; @bluestein_single_back_len840_dim1_half_op_CI_CI
; %bb.0:
	s_load_dwordx4 s[8:11], s[4:5], 0x28
	v_mul_u32_u24_e32 v1, 0x493, v0
	v_add_u32_sdwa v26, s6, v1 dst_sel:DWORD dst_unused:UNUSED_PAD src0_sel:DWORD src1_sel:WORD_1
	v_mov_b32_e32 v27, 0
	s_waitcnt lgkmcnt(0)
	v_cmp_gt_u64_e32 vcc, s[8:9], v[26:27]
	s_and_saveexec_b64 s[0:1], vcc
	s_cbranch_execz .LBB0_39
; %bb.1:
	s_load_dwordx4 s[12:15], s[4:5], 0x18
	v_mov_b32_e32 v2, 56
	v_mul_lo_u16_sdwa v1, v1, v2 dst_sel:DWORD dst_unused:UNUSED_PAD src0_sel:WORD_1 src1_sel:DWORD
	v_sub_u16_e32 v68, v0, v1
	v_lshlrev_b32_e32 v55, 2, v68
	s_waitcnt lgkmcnt(0)
	s_load_dwordx4 s[0:3], s[12:13], 0x0
	s_waitcnt lgkmcnt(0)
	v_mad_u64_u32 v[0:1], s[6:7], s2, v26, 0
	v_mad_u64_u32 v[2:3], s[6:7], s0, v68, 0
	s_load_dwordx2 s[12:13], s[4:5], 0x0
	v_mad_u64_u32 v[4:5], s[2:3], s3, v26, v[1:2]
	s_waitcnt lgkmcnt(0)
	global_load_dword v70, v55, s[12:13]
	v_mad_u64_u32 v[5:6], s[2:3], s1, v68, v[3:4]
	v_mov_b32_e32 v1, v4
	v_lshlrev_b64 v[0:1], 2, v[0:1]
	v_mov_b32_e32 v6, s11
	v_mov_b32_e32 v3, v5
	v_add_co_u32_e32 v4, vcc, s10, v0
	v_addc_co_u32_e32 v5, vcc, v6, v1, vcc
	v_lshlrev_b64 v[0:1], 2, v[2:3]
	s_mul_i32 s2, s1, 0x1a4
	v_add_co_u32_e32 v0, vcc, v4, v0
	v_addc_co_u32_e32 v1, vcc, v5, v1, vcc
	global_load_dword v2, v[0:1], off
	s_mul_hi_u32 s3, s0, 0x1a4
	s_add_i32 s3, s3, s2
	s_mul_i32 s2, s0, 0x1a4
	s_lshl_b64 s[2:3], s[2:3], 2
	v_mov_b32_e32 v3, s3
	v_add_co_u32_e32 v0, vcc, s2, v0
	v_addc_co_u32_e32 v1, vcc, v1, v3, vcc
	global_load_dword v4, v[0:1], off
	global_load_dword v69, v55, s[12:13] offset:1680
	s_load_dwordx2 s[6:7], s[4:5], 0x38
	s_load_dwordx4 s[8:11], s[14:15], 0x0
	s_mul_hi_u32 s15, s0, 0xfffffe94
	s_mulk_i32 s1, 0xfe94
	s_mul_i32 s14, s0, 0xfffffe94
	s_sub_i32 s0, s15, s0
	s_add_i32 s15, s0, s1
	s_lshl_b64 s[14:15], s[14:15], 2
	v_mov_b32_e32 v6, s15
	v_add_co_u32_e32 v0, vcc, s14, v0
	v_addc_co_u32_e32 v1, vcc, v1, v6, vcc
	global_load_dword v67, v55, s[12:13] offset:224
	global_load_dword v66, v55, s[12:13] offset:1904
	;; [unrolled: 1-line block ×4, first 2 shown]
	global_load_dword v7, v[0:1], off
	v_add_co_u32_e32 v0, vcc, s2, v0
	v_addc_co_u32_e32 v1, vcc, v1, v3, vcc
	global_load_dword v8, v[0:1], off
	global_load_dword v65, v55, s[12:13] offset:448
	global_load_dword v63, v55, s[12:13] offset:672
	;; [unrolled: 1-line block ×4, first 2 shown]
	v_add_co_u32_e32 v0, vcc, s14, v0
	v_addc_co_u32_e32 v1, vcc, v1, v6, vcc
	global_load_dword v9, v[0:1], off
	global_load_dword v57, v55, s[12:13] offset:1344
	v_add_co_u32_e32 v0, vcc, s2, v0
	v_addc_co_u32_e32 v1, vcc, v1, v3, vcc
	global_load_dword v10, v[0:1], off
	v_add_co_u32_e32 v0, vcc, s14, v0
	v_addc_co_u32_e32 v1, vcc, v1, v6, vcc
	v_mov_b32_e32 v5, s13
	global_load_dword v11, v[0:1], off
	v_add_co_u32_e32 v24, vcc, s12, v55
	v_addc_co_u32_e32 v25, vcc, 0, v5, vcc
	v_add_co_u32_e32 v0, vcc, s2, v0
	v_addc_co_u32_e32 v1, vcc, v1, v3, vcc
	global_load_dword v5, v[0:1], off
	v_add_co_u32_e32 v0, vcc, s14, v0
	v_addc_co_u32_e32 v1, vcc, v1, v6, vcc
	global_load_dword v12, v[0:1], off
	v_add_co_u32_e32 v0, vcc, s2, v0
	v_addc_co_u32_e32 v1, vcc, v1, v3, vcc
	global_load_dword v15, v[0:1], off
	global_load_dword v60, v55, s[12:13] offset:2576
	v_add_co_u32_e32 v0, vcc, s14, v0
	v_addc_co_u32_e32 v1, vcc, v1, v6, vcc
	v_cmp_gt_u16_e64 s[0:1], 28, v68
	s_waitcnt vmcnt(20)
	v_lshrrev_b32_e32 v13, 16, v2
	v_mul_f16_sdwa v14, v70, v13 dst_sel:DWORD dst_unused:UNUSED_PAD src0_sel:WORD_1 src1_sel:DWORD
	v_fma_f16 v14, v70, v2, v14
	v_mul_f16_sdwa v2, v70, v2 dst_sel:DWORD dst_unused:UNUSED_PAD src0_sel:WORD_1 src1_sel:DWORD
	v_fma_f16 v2, v70, v13, -v2
	global_load_dword v13, v[0:1], off
	v_add_co_u32_e32 v0, vcc, s2, v0
	v_addc_co_u32_e32 v1, vcc, v1, v3, vcc
	global_load_dword v17, v[0:1], off
	global_load_dword v58, v55, s[12:13] offset:2800
	v_add_co_u32_e32 v0, vcc, s14, v0
	v_addc_co_u32_e32 v1, vcc, v1, v6, vcc
	global_load_dword v6, v[0:1], off
	v_add_co_u32_e32 v0, vcc, s2, v0
	v_addc_co_u32_e32 v1, vcc, v1, v3, vcc
	global_load_dword v3, v[0:1], off
	global_load_dword v56, v55, s[12:13] offset:3024
	v_pack_b32_f16 v2, v14, v2
	s_waitcnt vmcnt(25)
	v_lshrrev_b32_e32 v14, 16, v4
	s_waitcnt vmcnt(24)
	v_mul_f16_sdwa v16, v69, v14 dst_sel:DWORD dst_unused:UNUSED_PAD src0_sel:WORD_1 src1_sel:DWORD
	v_fma_f16 v16, v69, v4, v16
	v_mul_f16_sdwa v4, v69, v4 dst_sel:DWORD dst_unused:UNUSED_PAD src0_sel:WORD_1 src1_sel:DWORD
	v_fma_f16 v4, v69, v14, -v4
	v_pack_b32_f16 v4, v16, v4
	ds_write_b32 v55, v4 offset:1680
	s_waitcnt vmcnt(19)
	v_lshrrev_b32_e32 v4, 16, v7
	v_mul_f16_sdwa v14, v67, v4 dst_sel:DWORD dst_unused:UNUSED_PAD src0_sel:WORD_1 src1_sel:DWORD
	v_fma_f16 v14, v67, v7, v14
	v_mul_f16_sdwa v7, v67, v7 dst_sel:DWORD dst_unused:UNUSED_PAD src0_sel:WORD_1 src1_sel:DWORD
	v_fma_f16 v4, v67, v4, -v7
	v_pack_b32_f16 v4, v14, v4
	ds_write2_b32 v55, v2, v4 offset1:56
	s_waitcnt vmcnt(18)
	v_lshrrev_b32_e32 v2, 16, v8
	v_mul_f16_sdwa v4, v66, v2 dst_sel:DWORD dst_unused:UNUSED_PAD src0_sel:WORD_1 src1_sel:DWORD
	v_mul_f16_sdwa v7, v66, v8 dst_sel:DWORD dst_unused:UNUSED_PAD src0_sel:WORD_1 src1_sel:DWORD
	v_fma_f16 v4, v66, v8, v4
	v_fma_f16 v2, v66, v2, -v7
	v_pack_b32_f16 v2, v4, v2
	s_waitcnt vmcnt(13)
	v_lshrrev_b32_e32 v4, 16, v9
	v_mul_f16_sdwa v7, v65, v4 dst_sel:DWORD dst_unused:UNUSED_PAD src0_sel:WORD_1 src1_sel:DWORD
	v_mul_f16_sdwa v8, v65, v9 dst_sel:DWORD dst_unused:UNUSED_PAD src0_sel:WORD_1 src1_sel:DWORD
	v_fma_f16 v7, v65, v9, v7
	v_fma_f16 v4, v65, v4, -v8
	v_pack_b32_f16 v7, v7, v4
	;; [unrolled: 7-line block ×3, first 2 shown]
	v_add_u32_e32 v4, 0x600, v55
	ds_write2_b32 v4, v2, v8 offset0:92 offset1:148
	s_waitcnt vmcnt(10)
	v_lshrrev_b32_e32 v2, 16, v11
	v_mul_f16_sdwa v8, v63, v2 dst_sel:DWORD dst_unused:UNUSED_PAD src0_sel:WORD_1 src1_sel:DWORD
	v_mul_f16_sdwa v9, v63, v11 dst_sel:DWORD dst_unused:UNUSED_PAD src0_sel:WORD_1 src1_sel:DWORD
	v_fma_f16 v8, v63, v11, v8
	v_fma_f16 v2, v63, v2, -v9
	v_pack_b32_f16 v2, v8, v2
	ds_write2_b32 v55, v7, v2 offset0:112 offset1:168
	s_waitcnt vmcnt(9)
	v_lshrrev_b32_e32 v2, 16, v5
	v_mul_f16_sdwa v7, v62, v2 dst_sel:DWORD dst_unused:UNUSED_PAD src0_sel:WORD_1 src1_sel:DWORD
	v_fma_f16 v7, v62, v5, v7
	v_mul_f16_sdwa v5, v62, v5 dst_sel:DWORD dst_unused:UNUSED_PAD src0_sel:WORD_1 src1_sel:DWORD
	v_fma_f16 v2, v62, v2, -v5
	s_waitcnt vmcnt(8)
	v_lshrrev_b32_e32 v5, 16, v12
	v_pack_b32_f16 v2, v7, v2
	v_mul_f16_sdwa v7, v61, v5 dst_sel:DWORD dst_unused:UNUSED_PAD src0_sel:WORD_1 src1_sel:DWORD
	v_mul_f16_sdwa v8, v61, v12 dst_sel:DWORD dst_unused:UNUSED_PAD src0_sel:WORD_1 src1_sel:DWORD
	v_fma_f16 v7, v61, v12, v7
	v_fma_f16 v5, v61, v5, -v8
	v_pack_b32_f16 v7, v7, v5
	s_waitcnt vmcnt(7)
	v_lshrrev_b32_e32 v5, 16, v15
	s_waitcnt vmcnt(6)
	v_mul_f16_sdwa v8, v60, v5 dst_sel:DWORD dst_unused:UNUSED_PAD src0_sel:WORD_1 src1_sel:DWORD
	v_mul_f16_sdwa v9, v60, v15 dst_sel:DWORD dst_unused:UNUSED_PAD src0_sel:WORD_1 src1_sel:DWORD
	v_fma_f16 v8, v60, v15, v8
	v_fma_f16 v5, v60, v5, -v9
	v_pack_b32_f16 v5, v8, v5
	v_add_u32_e32 v12, 0x800, v55
	ds_write2_b32 v12, v2, v5 offset0:76 offset1:132
	s_waitcnt vmcnt(5)
	v_lshrrev_b32_e32 v2, 16, v13
	v_mul_f16_sdwa v5, v59, v2 dst_sel:DWORD dst_unused:UNUSED_PAD src0_sel:WORD_1 src1_sel:DWORD
	v_mul_f16_sdwa v8, v59, v13 dst_sel:DWORD dst_unused:UNUSED_PAD src0_sel:WORD_1 src1_sel:DWORD
	v_fma_f16 v5, v59, v13, v5
	v_fma_f16 v2, v59, v2, -v8
	v_pack_b32_f16 v2, v5, v2
	v_add_u32_e32 v5, 0x200, v55
	ds_write2_b32 v5, v7, v2 offset0:96 offset1:152
	s_waitcnt vmcnt(4)
	v_lshrrev_b32_e32 v2, 16, v17
	s_waitcnt vmcnt(3)
	v_mul_f16_sdwa v7, v58, v2 dst_sel:DWORD dst_unused:UNUSED_PAD src0_sel:WORD_1 src1_sel:DWORD
	v_mul_f16_sdwa v8, v58, v17 dst_sel:DWORD dst_unused:UNUSED_PAD src0_sel:WORD_1 src1_sel:DWORD
	v_fma_f16 v7, v58, v17, v7
	v_fma_f16 v2, v58, v2, -v8
	v_pack_b32_f16 v2, v7, v2
	s_waitcnt vmcnt(2)
	v_lshrrev_b32_e32 v7, 16, v6
	v_mul_f16_sdwa v8, v57, v7 dst_sel:DWORD dst_unused:UNUSED_PAD src0_sel:WORD_1 src1_sel:DWORD
	v_fma_f16 v8, v57, v6, v8
	v_mul_f16_sdwa v6, v57, v6 dst_sel:DWORD dst_unused:UNUSED_PAD src0_sel:WORD_1 src1_sel:DWORD
	v_fma_f16 v6, v57, v7, -v6
	v_pack_b32_f16 v6, v8, v6
	ds_write_b32 v55, v6 offset:1344
	s_waitcnt vmcnt(1)
	v_lshrrev_b32_e32 v6, 16, v3
	s_waitcnt vmcnt(0)
	v_mul_f16_sdwa v7, v56, v6 dst_sel:DWORD dst_unused:UNUSED_PAD src0_sel:WORD_1 src1_sel:DWORD
	v_fma_f16 v7, v56, v3, v7
	v_mul_f16_sdwa v3, v56, v3 dst_sel:DWORD dst_unused:UNUSED_PAD src0_sel:WORD_1 src1_sel:DWORD
	v_fma_f16 v3, v56, v6, -v3
	v_pack_b32_f16 v3, v7, v3
	ds_write2_b32 v12, v2, v3 offset0:188 offset1:244
	s_and_saveexec_b64 s[16:17], s[0:1]
	s_cbranch_execz .LBB0_3
; %bb.2:
	v_mov_b32_e32 v2, s15
	v_add_co_u32_e32 v0, vcc, s14, v0
	v_addc_co_u32_e32 v1, vcc, v1, v2, vcc
	global_load_dword v2, v[0:1], off
	global_load_dword v3, v[24:25], off offset:1568
	v_mov_b32_e32 v6, s3
	v_add_co_u32_e32 v0, vcc, s2, v0
	v_addc_co_u32_e32 v1, vcc, v1, v6, vcc
	global_load_dword v6, v[0:1], off
	global_load_dword v7, v[24:25], off offset:3248
	s_waitcnt vmcnt(3)
	v_lshrrev_b32_e32 v0, 16, v2
	s_waitcnt vmcnt(2)
	v_mul_f16_sdwa v1, v3, v2 dst_sel:DWORD dst_unused:UNUSED_PAD src0_sel:WORD_1 src1_sel:DWORD
	v_mul_f16_sdwa v8, v3, v0 dst_sel:DWORD dst_unused:UNUSED_PAD src0_sel:WORD_1 src1_sel:DWORD
	v_fma_f16 v0, v3, v0, -v1
	v_fma_f16 v2, v3, v2, v8
	v_pack_b32_f16 v0, v2, v0
	s_waitcnt vmcnt(1)
	v_lshrrev_b32_e32 v1, 16, v6
	s_waitcnt vmcnt(0)
	v_mul_f16_sdwa v9, v7, v6 dst_sel:DWORD dst_unused:UNUSED_PAD src0_sel:WORD_1 src1_sel:DWORD
	v_mul_f16_sdwa v3, v7, v1 dst_sel:DWORD dst_unused:UNUSED_PAD src0_sel:WORD_1 src1_sel:DWORD
	v_fma_f16 v1, v7, v1, -v9
	v_fma_f16 v2, v7, v6, v3
	ds_write_b32 v55, v0 offset:1568
	v_pack_b32_f16 v0, v2, v1
	ds_write_b32 v55, v0 offset:3248
.LBB0_3:
	s_or_b64 exec, exec, s[16:17]
	v_add_u32_e32 v0, 0x400, v55
	s_waitcnt lgkmcnt(0)
	; wave barrier
	s_waitcnt lgkmcnt(0)
	ds_read2_b32 v[8:9], v55 offset1:56
	ds_read2_b32 v[2:3], v0 offset0:80 offset1:164
	ds_read2_b32 v[0:1], v4 offset0:92 offset1:148
	;; [unrolled: 1-line block ×6, first 2 shown]
                                        ; implicit-def: $vgpr14
                                        ; implicit-def: $vgpr15
	s_and_saveexec_b64 s[2:3], s[0:1]
	s_cbranch_execz .LBB0_5
; %bb.4:
	ds_read_b32 v14, v55 offset:1568
	ds_read_b32 v15, v55 offset:3248
.LBB0_5:
	s_or_b64 exec, exec, s[2:3]
	s_waitcnt lgkmcnt(5)
	v_pk_add_f16 v20, v8, v3 neg_lo:[0,1] neg_hi:[0,1]
	s_load_dwordx2 s[2:3], s[4:5], 0x8
	v_add_co_u32_e32 v16, vcc, 56, v68
	s_waitcnt lgkmcnt(0)
	v_pk_add_f16 v21, v9, v0 neg_lo:[0,1] neg_hi:[0,1]
	v_lshlrev_b32_e32 v73, 3, v68
	v_pk_fma_f16 v19, v8, 2.0, v20 op_sel_hi:[1,0,1] neg_lo:[0,0,1] neg_hi:[0,0,1]
	v_add_co_u32_e32 v29, vcc, 0x70, v68
	v_add_co_u32_e32 v18, vcc, 0xa8, v68
	s_movk_i32 s4, 0xe0
	v_pk_add_f16 v22, v6, v1 neg_lo:[0,1] neg_hi:[0,1]
	v_pk_add_f16 v10, v7, v10 neg_lo:[0,1] neg_hi:[0,1]
	s_waitcnt lgkmcnt(0)
	; wave barrier
	ds_write_b64 v73, v[19:20]
	v_lshlrev_b32_e32 v74, 3, v16
	v_pk_fma_f16 v20, v9, 2.0, v21 op_sel_hi:[1,0,1] neg_lo:[0,0,1] neg_hi:[0,0,1]
	v_add_co_u32_e32 v17, vcc, s4, v68
	v_lshlrev_b32_e32 v23, 1, v68
	s_movk_i32 s4, 0x188
	v_pk_add_f16 v11, v4, v11 neg_lo:[0,1] neg_hi:[0,1]
	ds_write_b64 v74, v[20:21]
	v_lshlrev_b32_e32 v75, 3, v29
	v_pk_fma_f16 v21, v6, 2.0, v22 op_sel_hi:[1,0,1] neg_lo:[0,0,1] neg_hi:[0,0,1]
	v_lshlrev_b32_e32 v77, 3, v18
	v_pk_fma_f16 v9, v7, 2.0, v10 op_sel_hi:[1,0,1] neg_lo:[0,0,1] neg_hi:[0,0,1]
	v_add_co_u32_e32 v27, vcc, s4, v68
	v_pk_add_f16 v12, v5, v12 neg_lo:[0,1] neg_hi:[0,1]
	v_pk_add_f16 v3, v2, v13 neg_lo:[0,1] neg_hi:[0,1]
	;; [unrolled: 1-line block ×3, first 2 shown]
	ds_write_b64 v75, v[21:22]
	ds_write_b64 v77, v[9:10]
	v_lshlrev_b32_e32 v78, 3, v17
	v_pk_fma_f16 v10, v4, 2.0, v11 op_sel_hi:[1,0,1] neg_lo:[0,0,1] neg_hi:[0,0,1]
	v_lshlrev_b32_e32 v4, 2, v23
	v_pk_fma_f16 v0, v14, 2.0, v1 op_sel_hi:[1,0,1] neg_lo:[0,0,1] neg_hi:[0,0,1]
	v_lshlrev_b32_e32 v19, 1, v16
	v_lshlrev_b32_e32 v20, 1, v29
	v_lshlrev_b32_e32 v21, 1, v18
	v_lshlrev_b32_e32 v22, 1, v17
	ds_write_b64 v78, v[10:11]
	v_add_u32_e32 v80, 0x230, v23
	v_pk_fma_f16 v11, v5, 2.0, v12 op_sel_hi:[1,0,1] neg_lo:[0,0,1] neg_hi:[0,0,1]
	v_add_u32_e32 v81, 0x2a0, v23
	v_pk_fma_f16 v2, v2, 2.0, v3 op_sel_hi:[1,0,1] neg_lo:[0,0,1] neg_hi:[0,0,1]
	v_add_u32_e32 v4, 0x800, v4
	v_lshlrev_b32_e32 v76, 3, v27
	ds_write2_b64 v4, v[11:12], v[2:3] offset0:24 offset1:80
	s_and_saveexec_b64 s[4:5], s[0:1]
	s_cbranch_execz .LBB0_7
; %bb.6:
	ds_write_b64 v76, v[0:1]
.LBB0_7:
	s_or_b64 exec, exec, s[4:5]
	v_add_u32_e32 v2, 0x400, v55
	v_add_u32_e32 v4, 0x600, v55
	s_waitcnt lgkmcnt(0)
	; wave barrier
	s_waitcnt lgkmcnt(0)
	ds_read2_b32 v[6:7], v55 offset1:56
	ds_read2_b32 v[2:3], v2 offset0:80 offset1:164
	ds_read2_b32 v[14:15], v4 offset0:92 offset1:148
	;; [unrolled: 1-line block ×3, first 2 shown]
	v_add_u32_e32 v10, 0x800, v55
	v_add_u32_e32 v4, 0x200, v55
	ds_read2_b32 v[12:13], v10 offset0:76 offset1:132
	ds_read2_b32 v[4:5], v4 offset0:96 offset1:152
	;; [unrolled: 1-line block ×3, first 2 shown]
	s_and_saveexec_b64 s[4:5], s[0:1]
	s_cbranch_execz .LBB0_9
; %bb.8:
	ds_read_b32 v0, v55 offset:1568
	ds_read_b32 v1, v55 offset:3248
.LBB0_9:
	s_or_b64 exec, exec, s[4:5]
	v_and_b32_e32 v71, 1, v68
	v_lshlrev_b32_e32 v43, 2, v71
	global_load_dword v72, v43, s[2:3]
	s_waitcnt lgkmcnt(5)
	v_lshrrev_b32_e32 v30, 16, v3
	s_waitcnt lgkmcnt(4)
	v_lshrrev_b32_e32 v32, 16, v14
	v_lshrrev_b32_e32 v34, 16, v15
	s_waitcnt lgkmcnt(2)
	v_lshrrev_b32_e32 v36, 16, v12
	;; [unrolled: 3-line block ×3, first 2 shown]
	v_lshrrev_b32_e32 v42, 16, v11
	v_lshrrev_b32_e32 v28, 16, v6
	;; [unrolled: 1-line block ×4, first 2 shown]
	s_movk_i32 s4, 0x7c
	s_waitcnt lgkmcnt(0)
	; wave barrier
	v_lshrrev_b32_e32 v35, 16, v9
	v_lshrrev_b32_e32 v37, 16, v4
	;; [unrolled: 1-line block ×3, first 2 shown]
	s_movk_i32 s5, 0x2fc
	v_lshrrev_b32_e32 v41, 16, v2
	v_lshlrev_b32_e32 v79, 1, v27
	s_waitcnt vmcnt(0)
	v_mul_f16_sdwa v43, v30, v72 dst_sel:DWORD dst_unused:UNUSED_PAD src0_sel:DWORD src1_sel:WORD_1
	v_fma_f16 v43, v3, v72, -v43
	v_mul_f16_sdwa v3, v3, v72 dst_sel:DWORD dst_unused:UNUSED_PAD src0_sel:DWORD src1_sel:WORD_1
	v_fma_f16 v3, v30, v72, v3
	v_mul_f16_sdwa v30, v32, v72 dst_sel:DWORD dst_unused:UNUSED_PAD src0_sel:DWORD src1_sel:WORD_1
	v_fma_f16 v30, v14, v72, -v30
	v_mul_f16_sdwa v14, v14, v72 dst_sel:DWORD dst_unused:UNUSED_PAD src0_sel:DWORD src1_sel:WORD_1
	v_fma_f16 v14, v32, v72, v14
	;; [unrolled: 4-line block ×7, first 2 shown]
	v_lshrrev_b32_e32 v42, 16, v1
	v_mul_f16_sdwa v44, v42, v72 dst_sel:DWORD dst_unused:UNUSED_PAD src0_sel:DWORD src1_sel:WORD_1
	v_fma_f16 v44, v1, v72, -v44
	v_mul_f16_sdwa v1, v1, v72 dst_sel:DWORD dst_unused:UNUSED_PAD src0_sel:DWORD src1_sel:WORD_1
	v_sub_f16_e32 v3, v28, v3
	v_fma_f16 v1, v42, v72, v1
	v_sub_f16_e32 v42, v6, v43
	v_fma_f16 v43, v28, 2.0, -v3
	v_sub_f16_e32 v28, v0, v44
	v_fma_f16 v6, v6, 2.0, -v42
	v_sub_f16_e32 v46, v31, v14
	v_sub_f16_e32 v47, v33, v15
	v_lshrrev_b32_e32 v15, 16, v0
	v_fma_f16 v14, v0, 2.0, -v28
	v_and_or_b32 v0, v23, s4, v71
	v_sub_f16_e32 v45, v7, v30
	v_sub_f16_e32 v30, v15, v1
	v_lshlrev_b32_e32 v83, 2, v0
	v_pack_b32_f16 v0, v6, v43
	v_pack_b32_f16 v1, v42, v3
	s_movk_i32 s4, 0xfc
	v_fma_f16 v7, v7, 2.0, -v45
	v_fma_f16 v31, v31, 2.0, -v46
	ds_write2_b32 v83, v0, v1 offset1:2
	v_and_or_b32 v0, v19, s4, v71
	v_sub_f16_e32 v32, v8, v32
	v_lshlrev_b32_e32 v84, 2, v0
	v_pack_b32_f16 v0, v7, v31
	v_pack_b32_f16 v1, v45, v46
	s_movk_i32 s4, 0x1fc
	v_fma_f16 v8, v8, 2.0, -v32
	v_fma_f16 v33, v33, 2.0, -v47
	ds_write2_b32 v84, v0, v1 offset1:2
	v_and_or_b32 v0, v20, s4, v71
	v_sub_f16_e32 v34, v9, v34
	v_sub_f16_e32 v12, v35, v12
	v_lshlrev_b32_e32 v86, 2, v0
	v_pack_b32_f16 v0, v8, v33
	v_pack_b32_f16 v1, v32, v47
	v_fma_f16 v9, v9, 2.0, -v34
	v_fma_f16 v35, v35, 2.0, -v12
	ds_write2_b32 v86, v0, v1 offset1:2
	v_and_or_b32 v0, v21, s4, v71
	v_sub_f16_e32 v36, v4, v36
	v_sub_f16_e32 v13, v37, v13
	v_lshlrev_b32_e32 v87, 2, v0
	v_pack_b32_f16 v0, v9, v35
	v_pack_b32_f16 v1, v34, v12
	s_movk_i32 s4, 0x3fc
	v_fma_f16 v4, v4, 2.0, -v36
	v_fma_f16 v37, v37, 2.0, -v13
	ds_write2_b32 v87, v0, v1 offset1:2
	v_and_or_b32 v0, v22, s4, v71
	v_sub_f16_e32 v38, v5, v38
	v_sub_f16_e32 v10, v39, v10
	v_lshlrev_b32_e32 v88, 2, v0
	v_pack_b32_f16 v0, v4, v37
	v_pack_b32_f16 v1, v36, v13
	v_fma_f16 v5, v5, 2.0, -v38
	v_fma_f16 v39, v39, 2.0, -v10
	ds_write2_b32 v88, v0, v1 offset1:2
	v_and_or_b32 v0, v80, s5, v71
	v_sub_f16_e32 v40, v2, v40
	v_sub_f16_e32 v11, v41, v11
	v_lshlrev_b32_e32 v89, 2, v0
	v_pack_b32_f16 v0, v5, v39
	v_pack_b32_f16 v1, v38, v10
	v_fma_f16 v2, v2, 2.0, -v40
	v_fma_f16 v41, v41, 2.0, -v11
	ds_write2_b32 v89, v0, v1 offset1:2
	v_and_or_b32 v0, v81, s4, v71
	v_fma_f16 v15, v15, 2.0, -v30
	v_lshlrev_b32_e32 v90, 2, v0
	v_pack_b32_f16 v0, v2, v41
	v_pack_b32_f16 v1, v40, v11
	ds_write2_b32 v90, v0, v1 offset1:2
	s_and_saveexec_b64 s[4:5], s[0:1]
	s_cbranch_execz .LBB0_11
; %bb.10:
	s_movk_i32 s14, 0x37c
	v_and_or_b32 v0, v79, s14, v71
	s_mov_b32 s14, 0x5040100
	v_lshlrev_b32_e32 v0, 2, v0
	v_perm_b32 v1, v15, v14, s14
	v_perm_b32 v2, v30, v28, s14
	ds_write2_b32 v0, v1, v2 offset1:2
.LBB0_11:
	s_or_b64 exec, exec, s[4:5]
	v_add_u32_e32 v0, 0x400, v55
	v_add_u32_e32 v2, 0x600, v55
	s_waitcnt lgkmcnt(0)
	; wave barrier
	s_waitcnt lgkmcnt(0)
	ds_read2_b32 v[4:5], v55 offset1:56
	ds_read2_b32 v[0:1], v0 offset0:80 offset1:164
	ds_read2_b32 v[12:13], v2 offset0:92 offset1:148
	;; [unrolled: 1-line block ×3, first 2 shown]
	v_add_u32_e32 v8, 0x800, v55
	v_add_u32_e32 v2, 0x200, v55
	ds_read2_b32 v[10:11], v8 offset0:76 offset1:132
	ds_read2_b32 v[2:3], v2 offset0:96 offset1:152
	;; [unrolled: 1-line block ×3, first 2 shown]
	s_and_saveexec_b64 s[4:5], s[0:1]
	s_cbranch_execz .LBB0_13
; %bb.12:
	ds_read_b32 v14, v55 offset:1568
	ds_read_b32 v28, v55 offset:3248
	s_waitcnt lgkmcnt(1)
	v_lshrrev_b32_e32 v15, 16, v14
	s_waitcnt lgkmcnt(0)
	v_lshrrev_b32_e32 v30, 16, v28
.LBB0_13:
	s_or_b64 exec, exec, s[4:5]
	v_and_b32_e32 v82, 3, v68
	v_lshlrev_b32_e32 v44, 2, v82
	global_load_dword v85, v44, s[2:3] offset:8
	s_waitcnt lgkmcnt(5)
	v_lshrrev_b32_e32 v31, 16, v1
	s_waitcnt lgkmcnt(4)
	v_lshrrev_b32_e32 v33, 16, v12
	v_lshrrev_b32_e32 v35, 16, v13
	s_waitcnt lgkmcnt(2)
	v_lshrrev_b32_e32 v37, 16, v10
	;; [unrolled: 3-line block ×3, first 2 shown]
	v_lshrrev_b32_e32 v43, 16, v9
	v_lshrrev_b32_e32 v27, 16, v4
	s_movk_i32 s4, 0x78
	v_lshrrev_b32_e32 v32, 16, v5
	v_and_or_b32 v23, v23, s4, v82
	v_lshlrev_b32_e32 v91, 2, v23
	s_movk_i32 s4, 0xf8
	v_lshrrev_b32_e32 v34, 16, v6
	s_waitcnt lgkmcnt(0)
	; wave barrier
	v_lshrrev_b32_e32 v36, 16, v7
	v_lshrrev_b32_e32 v38, 16, v2
	;; [unrolled: 1-line block ×3, first 2 shown]
	s_movk_i32 s5, 0x2f8
	v_lshrrev_b32_e32 v42, 16, v0
	s_waitcnt vmcnt(0)
	v_mul_f16_sdwa v44, v31, v85 dst_sel:DWORD dst_unused:UNUSED_PAD src0_sel:DWORD src1_sel:WORD_1
	v_fma_f16 v44, v1, v85, -v44
	v_mul_f16_sdwa v1, v1, v85 dst_sel:DWORD dst_unused:UNUSED_PAD src0_sel:DWORD src1_sel:WORD_1
	v_fma_f16 v1, v31, v85, v1
	v_mul_f16_sdwa v31, v33, v85 dst_sel:DWORD dst_unused:UNUSED_PAD src0_sel:DWORD src1_sel:WORD_1
	v_fma_f16 v31, v12, v85, -v31
	v_mul_f16_sdwa v12, v12, v85 dst_sel:DWORD dst_unused:UNUSED_PAD src0_sel:DWORD src1_sel:WORD_1
	v_fma_f16 v12, v33, v85, v12
	;; [unrolled: 4-line block ×8, first 2 shown]
	v_sub_f16_e32 v30, v4, v44
	v_sub_f16_e32 v1, v27, v1
	v_fma_f16 v4, v4, 2.0, -v30
	v_fma_f16 v27, v27, 2.0, -v1
	v_sub_f16_e32 v31, v5, v31
	v_sub_f16_e32 v12, v32, v12
	v_pack_b32_f16 v4, v4, v27
	v_pack_b32_f16 v1, v30, v1
	v_fma_f16 v5, v5, 2.0, -v31
	v_fma_f16 v32, v32, 2.0, -v12
	ds_write2_b32 v91, v4, v1 offset1:4
	v_and_or_b32 v1, v19, s4, v82
	v_sub_f16_e32 v33, v6, v33
	v_sub_f16_e32 v13, v34, v13
	v_lshlrev_b32_e32 v92, 2, v1
	v_pack_b32_f16 v1, v5, v32
	v_pack_b32_f16 v4, v31, v12
	s_movk_i32 s4, 0x1f8
	v_fma_f16 v6, v6, 2.0, -v33
	v_fma_f16 v34, v34, 2.0, -v13
	ds_write2_b32 v92, v1, v4 offset1:4
	v_and_or_b32 v1, v20, s4, v82
	v_sub_f16_e32 v35, v7, v35
	v_sub_f16_e32 v10, v36, v10
	v_lshlrev_b32_e32 v93, 2, v1
	v_pack_b32_f16 v1, v6, v34
	v_pack_b32_f16 v4, v33, v13
	v_fma_f16 v7, v7, 2.0, -v35
	v_fma_f16 v44, v36, 2.0, -v10
	ds_write2_b32 v93, v1, v4 offset1:4
	v_and_or_b32 v1, v21, s4, v82
	v_sub_f16_e32 v37, v2, v37
	v_sub_f16_e32 v11, v38, v11
	v_lshlrev_b32_e32 v94, 2, v1
	v_pack_b32_f16 v1, v7, v44
	v_pack_b32_f16 v4, v35, v10
	s_movk_i32 s4, 0x3f8
	v_fma_f16 v2, v2, 2.0, -v37
	v_fma_f16 v38, v38, 2.0, -v11
	ds_write2_b32 v94, v1, v4 offset1:4
	v_and_or_b32 v1, v22, s4, v82
	v_sub_f16_e32 v39, v3, v39
	v_sub_f16_e32 v8, v40, v8
	v_lshlrev_b32_e32 v95, 2, v1
	v_pack_b32_f16 v1, v2, v38
	v_pack_b32_f16 v2, v37, v11
	v_fma_f16 v3, v3, 2.0, -v39
	v_fma_f16 v40, v40, 2.0, -v8
	ds_write2_b32 v95, v1, v2 offset1:4
	v_and_or_b32 v1, v80, s5, v82
	v_sub_f16_e32 v41, v0, v41
	v_sub_f16_e32 v9, v42, v9
	v_lshlrev_b32_e32 v96, 2, v1
	v_pack_b32_f16 v1, v3, v40
	v_pack_b32_f16 v2, v39, v8
	;; [unrolled: 9-line block ×3, first 2 shown]
	ds_write2_b32 v97, v0, v1 offset1:4
	s_and_saveexec_b64 s[4:5], s[0:1]
	s_cbranch_execz .LBB0_15
; %bb.14:
	s_movk_i32 s14, 0x378
	v_fma_f16 v0, v14, 2.0, -v36
	v_fma_f16 v1, v15, 2.0, -v106
	v_and_or_b32 v2, v79, s14, v82
	s_mov_b32 s14, 0x5040100
	v_lshlrev_b32_e32 v2, 2, v2
	v_pack_b32_f16 v0, v0, v1
	v_perm_b32 v1, v106, v36, s14
	ds_write2_b32 v2, v0, v1 offset1:4
.LBB0_15:
	s_or_b64 exec, exec, s[4:5]
	v_and_b32_e32 v15, 7, v68
	v_lshlrev_b32_e32 v0, 3, v15
	s_waitcnt lgkmcnt(0)
	; wave barrier
	s_waitcnt lgkmcnt(0)
	global_load_dwordx2 v[27:28], v0, s[2:3] offset:24
	ds_read2_b32 v[3:4], v55 offset1:56
	v_add_u32_e32 v2, 0x200, v55
	v_add_u32_e32 v0, 0x800, v55
	;; [unrolled: 1-line block ×3, first 2 shown]
	ds_read2_b32 v[5:6], v55 offset0:112 offset1:168
	ds_read_b32 v21, v55 offset:3136
	ds_read2_b32 v[7:8], v2 offset0:96 offset1:152
	ds_read2_b32 v[9:10], v0 offset0:48 offset1:104
	;; [unrolled: 1-line block ×5, first 2 shown]
	s_waitcnt lgkmcnt(4)
	v_lshrrev_b32_e32 v33, 16, v8
	s_waitcnt lgkmcnt(3)
	v_lshrrev_b32_e32 v34, 16, v9
	;; [unrolled: 2-line block ×3, first 2 shown]
	v_lshrrev_b32_e32 v37, 16, v10
	v_lshrrev_b32_e32 v22, 16, v3
	s_movk_i32 s4, 0x3aee
	s_mov_b32 s5, 0xbaee
	v_lshrrev_b32_e32 v38, 16, v12
	s_waitcnt lgkmcnt(1)
	v_lshrrev_b32_e32 v39, 16, v13
	v_lshrrev_b32_e32 v23, 16, v4
	s_waitcnt lgkmcnt(0)
	v_lshrrev_b32_e32 v40, 16, v19
	v_lshrrev_b32_e32 v41, 16, v14
	;; [unrolled: 1-line block ×7, first 2 shown]
	s_waitcnt lgkmcnt(0)
	; wave barrier
	s_mov_b32 s15, 0xbb9c
	s_mov_b32 s16, 0xb8b4
	s_movk_i32 s14, 0x34f2
	v_cmp_gt_u16_e32 vcc, 8, v68
	s_waitcnt vmcnt(0)
	v_mul_f16_sdwa v44, v33, v27 dst_sel:DWORD dst_unused:UNUSED_PAD src0_sel:DWORD src1_sel:WORD_1
	v_mul_f16_sdwa v45, v8, v27 dst_sel:DWORD dst_unused:UNUSED_PAD src0_sel:DWORD src1_sel:WORD_1
	;; [unrolled: 1-line block ×6, first 2 shown]
	v_fma_f16 v8, v8, v27, -v44
	v_fma_f16 v33, v33, v27, v45
	v_fma_f16 v9, v9, v28, -v46
	v_fma_f16 v34, v34, v28, v47
	v_mul_f16_sdwa v49, v11, v27 dst_sel:DWORD dst_unused:UNUSED_PAD src0_sel:DWORD src1_sel:WORD_1
	v_mul_f16_sdwa v51, v10, v28 dst_sel:DWORD dst_unused:UNUSED_PAD src0_sel:DWORD src1_sel:WORD_1
	v_fma_f16 v11, v11, v27, -v48
	v_fma_f16 v10, v10, v28, -v50
	v_add_f16_e32 v45, v8, v9
	v_sub_f16_e32 v46, v33, v34
	v_add_f16_e32 v47, v22, v33
	v_add_f16_e32 v33, v33, v34
	v_fma_f16 v35, v35, v27, v49
	v_fma_f16 v37, v37, v28, v51
	v_add_f16_e32 v44, v3, v8
	v_sub_f16_e32 v8, v8, v9
	v_fma_f16 v3, v45, -0.5, v3
	v_fma_f16 v22, v33, -0.5, v22
	v_add_f16_e32 v45, v11, v10
	v_mul_f16_sdwa v52, v38, v27 dst_sel:DWORD dst_unused:UNUSED_PAD src0_sel:DWORD src1_sel:WORD_1
	v_mul_f16_sdwa v54, v39, v28 dst_sel:DWORD dst_unused:UNUSED_PAD src0_sel:DWORD src1_sel:WORD_1
	v_add_f16_e32 v9, v44, v9
	v_fma_f16 v44, v8, s5, v22
	v_fma_f16 v8, v8, s4, v22
	v_add_f16_e32 v22, v4, v11
	v_fma_f16 v4, v45, -0.5, v4
	v_sub_f16_e32 v45, v35, v37
	v_mul_f16_sdwa v53, v12, v27 dst_sel:DWORD dst_unused:UNUSED_PAD src0_sel:DWORD src1_sel:WORD_1
	v_mul_f16_sdwa v98, v13, v28 dst_sel:DWORD dst_unused:UNUSED_PAD src0_sel:DWORD src1_sel:WORD_1
	v_fma_f16 v12, v12, v27, -v52
	v_fma_f16 v13, v13, v28, -v54
	v_fma_f16 v33, v46, s4, v3
	v_fma_f16 v3, v46, s5, v3
	;; [unrolled: 1-line block ×4, first 2 shown]
	v_add_f16_e32 v45, v23, v35
	v_add_f16_e32 v35, v35, v37
	v_fma_f16 v38, v38, v27, v53
	v_fma_f16 v39, v39, v28, v98
	v_add_f16_e32 v22, v22, v10
	v_fma_f16 v23, v35, -0.5, v23
	v_sub_f16_e32 v10, v11, v10
	v_add_f16_e32 v35, v12, v13
	v_mul_f16_sdwa v99, v40, v27 dst_sel:DWORD dst_unused:UNUSED_PAD src0_sel:DWORD src1_sel:WORD_1
	v_mul_f16_sdwa v101, v41, v28 dst_sel:DWORD dst_unused:UNUSED_PAD src0_sel:DWORD src1_sel:WORD_1
	v_fma_f16 v11, v10, s5, v23
	v_fma_f16 v10, v10, s4, v23
	v_add_f16_e32 v23, v5, v12
	v_fma_f16 v5, v35, -0.5, v5
	v_sub_f16_e32 v35, v38, v39
	v_mul_f16_sdwa v100, v19, v27 dst_sel:DWORD dst_unused:UNUSED_PAD src0_sel:DWORD src1_sel:WORD_1
	v_mul_f16_sdwa v102, v14, v28 dst_sel:DWORD dst_unused:UNUSED_PAD src0_sel:DWORD src1_sel:WORD_1
	v_fma_f16 v19, v19, v27, -v99
	v_fma_f16 v14, v14, v28, -v101
	v_add_f16_e32 v45, v45, v37
	v_fma_f16 v37, v35, s4, v5
	v_fma_f16 v5, v35, s5, v5
	v_add_f16_e32 v35, v30, v38
	v_add_f16_e32 v38, v38, v39
	v_fma_f16 v40, v40, v27, v100
	v_fma_f16 v41, v41, v28, v102
	v_fma_f16 v30, v38, -0.5, v30
	v_sub_f16_e32 v12, v12, v13
	v_add_f16_e32 v38, v19, v14
	v_mul_f16_sdwa v103, v43, v27 dst_sel:DWORD dst_unused:UNUSED_PAD src0_sel:DWORD src1_sel:WORD_1
	v_mul_f16_sdwa v105, v32, v28 dst_sel:DWORD dst_unused:UNUSED_PAD src0_sel:DWORD src1_sel:WORD_1
	v_add_f16_e32 v23, v23, v13
	v_fma_f16 v13, v12, s5, v30
	v_fma_f16 v12, v12, s4, v30
	v_add_f16_e32 v30, v6, v19
	v_fma_f16 v6, v38, -0.5, v6
	v_sub_f16_e32 v38, v40, v41
	v_mul_f16_sdwa v104, v20, v27 dst_sel:DWORD dst_unused:UNUSED_PAD src0_sel:DWORD src1_sel:WORD_1
	v_mul_f16_sdwa v107, v21, v28 dst_sel:DWORD dst_unused:UNUSED_PAD src0_sel:DWORD src1_sel:WORD_1
	v_fma_f16 v20, v20, v27, -v103
	v_fma_f16 v21, v21, v28, -v105
	v_add_f16_e32 v35, v35, v39
	v_fma_f16 v39, v38, s4, v6
	v_fma_f16 v6, v38, s5, v6
	v_add_f16_e32 v38, v31, v40
	v_add_f16_e32 v40, v40, v41
	v_fma_f16 v43, v43, v27, v104
	v_fma_f16 v32, v32, v28, v107
	v_add_f16_e32 v30, v30, v14
	v_fma_f16 v31, v40, -0.5, v31
	v_sub_f16_e32 v14, v19, v14
	v_add_f16_e32 v40, v20, v21
	v_fma_f16 v19, v14, s5, v31
	v_fma_f16 v14, v14, s4, v31
	v_add_f16_e32 v31, v7, v20
	v_fma_f16 v7, v40, -0.5, v7
	v_sub_f16_e32 v40, v43, v32
	v_add_f16_e32 v38, v38, v41
	v_fma_f16 v41, v40, s4, v7
	v_fma_f16 v7, v40, s5, v7
	v_add_f16_e32 v40, v42, v43
	v_add_f16_e32 v40, v40, v32
	;; [unrolled: 1-line block ×3, first 2 shown]
	v_fma_f16 v32, v32, -0.5, v42
	v_sub_f16_e32 v20, v20, v21
	v_add_f16_e32 v31, v31, v21
	v_fma_f16 v21, v20, s5, v32
	v_fma_f16 v20, v20, s4, v32
	v_lshrrev_b32_e32 v32, 3, v68
	v_mul_u32_u24_e32 v32, 24, v32
	v_or_b32_e32 v32, v32, v15
	v_lshlrev_b32_e32 v98, 2, v32
	v_pack_b32_f16 v3, v3, v8
	ds_write_b32 v98, v3 offset:64
	v_lshrrev_b32_e32 v3, 3, v16
	v_mul_u32_u24_e32 v3, 24, v3
	v_add_f16_e32 v34, v47, v34
	v_or_b32_e32 v3, v3, v15
	v_pack_b32_f16 v9, v9, v34
	v_pack_b32_f16 v32, v33, v44
	v_lshlrev_b32_e32 v99, 2, v3
	v_pack_b32_f16 v3, v22, v45
	v_pack_b32_f16 v8, v46, v11
	ds_write2_b32 v98, v9, v32 offset1:8
	ds_write2_b32 v99, v3, v8 offset1:8
	v_pack_b32_f16 v3, v4, v10
	ds_write_b32 v99, v3 offset:64
	v_lshrrev_b32_e32 v3, 3, v29
	v_mul_u32_u24_e32 v3, 24, v3
	v_or_b32_e32 v3, v3, v15
	v_lshlrev_b32_e32 v100, 2, v3
	v_pack_b32_f16 v3, v23, v35
	v_pack_b32_f16 v4, v37, v13
	ds_write2_b32 v100, v3, v4 offset1:8
	v_pack_b32_f16 v3, v5, v12
	ds_write_b32 v100, v3 offset:64
	v_lshrrev_b32_e32 v3, 3, v18
	v_mul_u32_u24_e32 v3, 24, v3
	v_or_b32_e32 v3, v3, v15
	v_lshlrev_b32_e32 v101, 2, v3
	v_pack_b32_f16 v3, v30, v38
	v_pack_b32_f16 v4, v39, v19
	;; [unrolled: 9-line block ×3, first 2 shown]
	ds_write2_b32 v102, v3, v4 offset1:8
	v_pack_b32_f16 v3, v7, v20
	s_movk_i32 s4, 0xab
	ds_write_b32 v102, v3 offset:64
	v_mul_lo_u16_sdwa v3, v68, s4 dst_sel:DWORD dst_unused:UNUSED_PAD src0_sel:BYTE_0 src1_sel:DWORD
	v_lshrrev_b16_e32 v3, 12, v3
	v_mul_lo_u16_e32 v4, 24, v3
	v_sub_u16_e32 v4, v68, v4
	v_and_b32_e32 v37, 0xff, v4
	v_lshlrev_b32_e32 v4, 4, v37
	s_waitcnt lgkmcnt(0)
	; wave barrier
	s_waitcnt lgkmcnt(0)
	global_load_dwordx4 v[4:7], v4, s[2:3] offset:88
	v_mul_lo_u16_sdwa v8, v16, s4 dst_sel:DWORD dst_unused:UNUSED_PAD src0_sel:BYTE_0 src1_sel:DWORD
	v_lshrrev_b16_e32 v38, 12, v8
	v_mul_lo_u16_e32 v8, 24, v38
	v_sub_u16_e32 v8, v16, v8
	v_and_b32_e32 v39, 0xff, v8
	v_lshlrev_b32_e32 v8, 4, v39
	global_load_dwordx4 v[8:11], v8, s[2:3] offset:88
	v_mul_lo_u16_sdwa v12, v29, s4 dst_sel:DWORD dst_unused:UNUSED_PAD src0_sel:BYTE_0 src1_sel:DWORD
	v_lshrrev_b16_e32 v40, 12, v12
	v_mul_lo_u16_e32 v12, 24, v40
	v_sub_u16_e32 v12, v29, v12
	v_and_b32_e32 v41, 0xff, v12
	v_lshlrev_b32_e32 v12, 4, v41
	global_load_dwordx4 v[12:15], v12, s[2:3] offset:88
	ds_read2_b32 v[16:17], v55 offset1:56
	ds_read2_b32 v[18:19], v55 offset0:112 offset1:168
	ds_read2_b32 v[20:21], v1 offset0:80 offset1:136
	;; [unrolled: 1-line block ×5, first 2 shown]
	s_waitcnt lgkmcnt(4)
	v_lshrrev_b32_e32 v43, 16, v19
	s_waitcnt lgkmcnt(3)
	v_lshrrev_b32_e32 v44, 16, v20
	;; [unrolled: 2-line block ×4, first 2 shown]
	ds_read2_b32 v[34:35], v0 offset0:48 offset1:104
	s_waitcnt lgkmcnt(1)
	v_lshrrev_b32_e32 v48, 16, v32
	v_lshrrev_b32_e32 v49, 16, v21
	;; [unrolled: 1-line block ×4, first 2 shown]
	s_waitcnt lgkmcnt(0)
	v_lshrrev_b32_e32 v50, 16, v34
	ds_read_b32 v52, v55 offset:3136
	v_lshrrev_b32_e32 v103, 16, v22
	v_lshrrev_b32_e32 v104, 16, v35
	s_movk_i32 s4, 0x3b9c
	s_movk_i32 s5, 0x38b4
	s_waitcnt lgkmcnt(0)
	v_lshrrev_b32_e32 v105, 16, v52
	v_lshrrev_b32_e32 v42, 16, v16
	;; [unrolled: 1-line block ×4, first 2 shown]
	v_mul_u32_u24_e32 v3, 0x78, v3
	s_waitcnt lgkmcnt(0)
	; wave barrier
	s_waitcnt vmcnt(2)
	v_mul_f16_sdwa v107, v43, v4 dst_sel:DWORD dst_unused:UNUSED_PAD src0_sel:DWORD src1_sel:WORD_1
	v_fma_f16 v107, v19, v4, -v107
	v_mul_f16_sdwa v19, v19, v4 dst_sel:DWORD dst_unused:UNUSED_PAD src0_sel:DWORD src1_sel:WORD_1
	v_fma_f16 v19, v43, v4, v19
	v_mul_f16_sdwa v43, v44, v5 dst_sel:DWORD dst_unused:UNUSED_PAD src0_sel:DWORD src1_sel:WORD_1
	v_fma_f16 v43, v20, v5, -v43
	v_mul_f16_sdwa v20, v20, v5 dst_sel:DWORD dst_unused:UNUSED_PAD src0_sel:DWORD src1_sel:WORD_1
	v_fma_f16 v20, v44, v5, v20
	v_mul_f16_sdwa v44, v45, v6 dst_sel:DWORD dst_unused:UNUSED_PAD src0_sel:DWORD src1_sel:WORD_1
	v_fma_f16 v44, v23, v6, -v44
	v_mul_f16_sdwa v23, v23, v6 dst_sel:DWORD dst_unused:UNUSED_PAD src0_sel:DWORD src1_sel:WORD_1
	v_fma_f16 v23, v45, v6, v23
	v_mul_f16_sdwa v45, v46, v7 dst_sel:DWORD dst_unused:UNUSED_PAD src0_sel:DWORD src1_sel:WORD_1
	v_fma_f16 v45, v30, v7, -v45
	v_mul_f16_sdwa v30, v30, v7 dst_sel:DWORD dst_unused:UNUSED_PAD src0_sel:DWORD src1_sel:WORD_1
	v_fma_f16 v30, v46, v7, v30
	s_waitcnt vmcnt(1)
	v_mul_f16_sdwa v46, v48, v8 dst_sel:DWORD dst_unused:UNUSED_PAD src0_sel:DWORD src1_sel:WORD_1
	v_fma_f16 v46, v32, v8, -v46
	v_mul_f16_sdwa v32, v32, v8 dst_sel:DWORD dst_unused:UNUSED_PAD src0_sel:DWORD src1_sel:WORD_1
	v_fma_f16 v32, v48, v8, v32
	v_mul_f16_sdwa v48, v49, v9 dst_sel:DWORD dst_unused:UNUSED_PAD src0_sel:DWORD src1_sel:WORD_1
	v_fma_f16 v48, v21, v9, -v48
	v_mul_f16_sdwa v21, v21, v9 dst_sel:DWORD dst_unused:UNUSED_PAD src0_sel:DWORD src1_sel:WORD_1
	v_fma_f16 v21, v49, v9, v21
	v_mul_f16_sdwa v49, v50, v10 dst_sel:DWORD dst_unused:UNUSED_PAD src0_sel:DWORD src1_sel:WORD_1
	v_fma_f16 v49, v34, v10, -v49
	v_mul_f16_sdwa v34, v34, v10 dst_sel:DWORD dst_unused:UNUSED_PAD src0_sel:DWORD src1_sel:WORD_1
	v_fma_f16 v34, v50, v10, v34
	v_mul_f16_sdwa v50, v51, v11 dst_sel:DWORD dst_unused:UNUSED_PAD src0_sel:DWORD src1_sel:WORD_1
	v_fma_f16 v50, v31, v11, -v50
	v_mul_f16_sdwa v31, v31, v11 dst_sel:DWORD dst_unused:UNUSED_PAD src0_sel:DWORD src1_sel:WORD_1
	v_fma_f16 v31, v51, v11, v31
	;; [unrolled: 17-line block ×3, first 2 shown]
	v_add_f16_e32 v35, v16, v107
	v_add_f16_e32 v35, v35, v43
	;; [unrolled: 1-line block ×5, first 2 shown]
	v_fma_f16 v35, v35, -0.5, v16
	v_sub_f16_e32 v109, v19, v30
	v_fma_f16 v110, v109, s4, v35
	v_sub_f16_e32 v111, v20, v23
	v_sub_f16_e32 v112, v107, v43
	;; [unrolled: 1-line block ×3, first 2 shown]
	v_fma_f16 v35, v109, s15, v35
	v_fma_f16 v110, v111, s5, v110
	v_add_f16_e32 v112, v112, v113
	v_fma_f16 v35, v111, s16, v35
	v_fma_f16 v110, v112, s14, v110
	;; [unrolled: 1-line block ×3, first 2 shown]
	v_add_f16_e32 v35, v107, v45
	v_fma_f16 v16, v35, -0.5, v16
	v_fma_f16 v35, v111, s15, v16
	v_sub_f16_e32 v113, v43, v107
	v_sub_f16_e32 v114, v44, v45
	v_fma_f16 v35, v109, s5, v35
	v_add_f16_e32 v113, v113, v114
	v_fma_f16 v114, v113, s14, v35
	v_add_f16_e32 v35, v42, v19
	v_add_f16_e32 v35, v35, v20
	v_fma_f16 v16, v111, s4, v16
	v_add_f16_e32 v35, v35, v23
	v_fma_f16 v16, v109, s16, v16
	v_add_f16_e32 v109, v35, v30
	v_add_f16_e32 v35, v20, v23
	v_fma_f16 v35, v35, -0.5, v42
	v_sub_f16_e32 v45, v107, v45
	v_fma_f16 v107, v45, s15, v35
	v_sub_f16_e32 v43, v43, v44
	v_fma_f16 v44, v43, s16, v107
	v_sub_f16_e32 v107, v19, v20
	v_sub_f16_e32 v111, v30, v23
	v_fma_f16 v35, v45, s4, v35
	v_add_f16_e32 v107, v107, v111
	v_fma_f16 v35, v43, s5, v35
	v_fma_f16 v111, v107, s14, v35
	v_add_f16_e32 v35, v19, v30
	v_fma_f16 v35, v35, -0.5, v42
	v_fma_f16 v42, v43, s4, v35
	v_sub_f16_e32 v19, v20, v19
	v_sub_f16_e32 v20, v23, v30
	v_add_f16_e32 v30, v48, v49
	v_fma_f16 v42, v45, s16, v42
	v_add_f16_e32 v19, v19, v20
	v_fma_f16 v23, v43, s15, v35
	v_fma_f16 v30, v30, -0.5, v17
	v_sub_f16_e32 v35, v32, v31
	v_fma_f16 v44, v107, s14, v44
	v_fma_f16 v20, v19, s14, v42
	;; [unrolled: 1-line block ×4, first 2 shown]
	v_sub_f16_e32 v43, v21, v34
	v_sub_f16_e32 v45, v46, v48
	;; [unrolled: 1-line block ×3, first 2 shown]
	v_fma_f16 v30, v35, s15, v30
	v_fma_f16 v42, v43, s5, v42
	v_add_f16_e32 v45, v45, v107
	v_fma_f16 v30, v43, s16, v30
	v_fma_f16 v42, v45, s14, v42
	;; [unrolled: 1-line block ×3, first 2 shown]
	v_add_f16_e32 v45, v46, v50
	v_fma_f16 v19, v19, s14, v23
	v_add_f16_e32 v23, v17, v46
	v_fma_f16 v17, v45, -0.5, v17
	v_fma_f16 v45, v43, s15, v17
	v_fma_f16 v17, v43, s4, v17
	;; [unrolled: 1-line block ×4, first 2 shown]
	v_add_f16_e32 v35, v47, v32
	v_add_f16_e32 v35, v35, v21
	;; [unrolled: 1-line block ×6, first 2 shown]
	v_fma_f16 v16, v113, s14, v16
	v_add_f16_e32 v23, v23, v49
	v_sub_f16_e32 v107, v48, v46
	v_sub_f16_e32 v113, v49, v50
	v_fma_f16 v35, v35, -0.5, v47
	v_sub_f16_e32 v46, v46, v50
	v_add_f16_e32 v23, v23, v50
	v_add_f16_e32 v107, v107, v113
	v_fma_f16 v50, v46, s15, v35
	v_sub_f16_e32 v48, v48, v49
	v_fma_f16 v45, v107, s14, v45
	v_fma_f16 v17, v107, s14, v17
	;; [unrolled: 1-line block ×3, first 2 shown]
	v_sub_f16_e32 v50, v32, v21
	v_sub_f16_e32 v107, v31, v34
	v_fma_f16 v35, v46, s4, v35
	v_add_f16_e32 v50, v50, v107
	v_fma_f16 v35, v48, s5, v35
	v_fma_f16 v49, v50, s14, v49
	;; [unrolled: 1-line block ×3, first 2 shown]
	v_add_f16_e32 v35, v32, v31
	v_fma_f16 v35, v35, -0.5, v47
	v_fma_f16 v47, v48, s4, v35
	v_sub_f16_e32 v21, v21, v32
	v_sub_f16_e32 v31, v34, v31
	v_fma_f16 v32, v48, s15, v35
	v_add_f16_e32 v34, v54, v103
	v_fma_f16 v47, v46, s16, v47
	v_add_f16_e32 v21, v21, v31
	v_fma_f16 v32, v46, s5, v32
	v_fma_f16 v34, v34, -0.5, v18
	v_sub_f16_e32 v46, v33, v52
	v_fma_f16 v31, v21, s14, v47
	v_fma_f16 v35, v46, s4, v34
	v_sub_f16_e32 v47, v22, v104
	v_sub_f16_e32 v48, v51, v54
	;; [unrolled: 1-line block ×3, first 2 shown]
	v_fma_f16 v34, v46, s15, v34
	v_fma_f16 v35, v47, s5, v35
	v_add_f16_e32 v48, v48, v107
	v_fma_f16 v34, v47, s16, v34
	v_fma_f16 v113, v48, s14, v35
	v_fma_f16 v35, v48, s14, v34
	v_add_f16_e32 v34, v51, v108
	v_fma_f16 v21, v21, s14, v32
	v_add_f16_e32 v32, v18, v51
	v_fma_f16 v18, v34, -0.5, v18
	v_fma_f16 v34, v47, s15, v18
	v_sub_f16_e32 v48, v54, v51
	v_sub_f16_e32 v107, v103, v108
	v_fma_f16 v18, v47, s4, v18
	v_fma_f16 v34, v46, s5, v34
	v_add_f16_e32 v48, v48, v107
	v_fma_f16 v18, v46, s16, v18
	v_add_f16_e32 v47, v22, v104
	v_add_f16_e32 v32, v32, v54
	v_fma_f16 v34, v48, s14, v34
	v_fma_f16 v18, v48, s14, v18
	v_fma_f16 v47, v47, -0.5, v53
	v_sub_f16_e32 v48, v51, v108
	v_add_f16_e32 v32, v32, v103
	v_fma_f16 v51, v48, s15, v47
	v_sub_f16_e32 v54, v54, v103
	v_sub_f16_e32 v103, v33, v22
	;; [unrolled: 1-line block ×3, first 2 shown]
	v_fma_f16 v47, v48, s4, v47
	v_fma_f16 v51, v54, s16, v51
	v_add_f16_e32 v103, v103, v107
	v_fma_f16 v47, v54, s5, v47
	v_fma_f16 v51, v103, s14, v51
	;; [unrolled: 1-line block ×3, first 2 shown]
	v_add_lshl_u32 v103, v3, v37, 2
	v_pack_b32_f16 v3, v105, v109
	v_pack_b32_f16 v37, v110, v44
	ds_write2_b32 v103, v3, v37 offset1:24
	v_pack_b32_f16 v3, v114, v20
	v_pack_b32_f16 v16, v16, v19
	v_add_f16_e32 v46, v53, v33
	ds_write2_b32 v103, v3, v16 offset0:48 offset1:72
	v_pack_b32_f16 v3, v112, v111
	v_add_f16_e32 v46, v46, v22
	ds_write_b32 v103, v3 offset:384
	v_mul_u32_u24_e32 v3, 0x78, v38
	v_add_f16_e32 v46, v46, v104
	v_add_f16_e32 v47, v33, v52
	v_sub_f16_e32 v22, v22, v33
	v_sub_f16_e32 v33, v104, v52
	v_add_lshl_u32 v104, v3, v39, 2
	v_pack_b32_f16 v3, v23, v43
	v_pack_b32_f16 v16, v42, v49
	v_fma_f16 v47, v47, -0.5, v53
	ds_write2_b32 v104, v3, v16 offset1:24
	v_pack_b32_f16 v3, v45, v31
	v_pack_b32_f16 v16, v17, v21
	v_fma_f16 v53, v54, s4, v47
	v_fma_f16 v47, v54, s15, v47
	ds_write2_b32 v104, v3, v16 offset0:48 offset1:72
	v_pack_b32_f16 v3, v30, v50
	v_add_f16_e32 v32, v32, v108
	v_add_f16_e32 v46, v46, v52
	v_fma_f16 v53, v48, s16, v53
	v_add_f16_e32 v22, v22, v33
	v_fma_f16 v47, v48, s5, v47
	ds_write_b32 v104, v3 offset:384
	v_mul_u32_u24_e32 v3, 0x78, v40
	v_fma_f16 v33, v22, s14, v53
	v_fma_f16 v22, v22, s14, v47
	v_add_lshl_u32 v105, v3, v41, 2
	v_pack_b32_f16 v3, v32, v46
	v_pack_b32_f16 v16, v113, v51
	ds_write2_b32 v105, v3, v16 offset1:24
	v_pack_b32_f16 v3, v34, v33
	v_pack_b32_f16 v16, v18, v22
	ds_write2_b32 v105, v3, v16 offset0:48 offset1:72
	v_pack_b32_f16 v3, v35, v107
	ds_write_b32 v105, v3 offset:384
	s_waitcnt lgkmcnt(0)
	; wave barrier
	s_waitcnt lgkmcnt(0)
	ds_read2_b32 v[37:38], v55 offset1:56
	ds_read2_b32 v[39:40], v55 offset0:120 offset1:176
	ds_read2_b32 v[41:42], v2 offset0:112 offset1:168
	;; [unrolled: 1-line block ×3, first 2 shown]
	v_add_u32_e32 v2, 0x600, v55
	ds_read2_b32 v[45:46], v2 offset0:96 offset1:152
	ds_read2_b32 v[47:48], v0 offset0:88 offset1:144
	v_add_u32_e32 v2, 0xa00, v55
	ds_read2_b32 v[49:50], v2 offset0:80 offset1:136
                                        ; implicit-def: $vgpr52
                                        ; implicit-def: $vgpr111
                                        ; implicit-def: $vgpr54
                                        ; implicit-def: $vgpr109
                                        ; implicit-def: $vgpr108
                                        ; implicit-def: $vgpr110
                                        ; implicit-def: $vgpr112
                                        ; implicit-def: $vgpr113
	s_and_saveexec_b64 s[4:5], vcc
	s_cbranch_execz .LBB0_17
; %bb.16:
	ds_read2_b32 v[35:36], v55 offset0:112 offset1:232
	ds_read2_b32 v[51:52], v1 offset0:96 offset1:216
	;; [unrolled: 1-line block ×3, first 2 shown]
	ds_read_b32 v108, v55 offset:3328
	s_waitcnt lgkmcnt(3)
	v_lshrrev_b32_e32 v107, 16, v35
	v_lshrrev_b32_e32 v106, 16, v36
	s_waitcnt lgkmcnt(2)
	v_lshrrev_b32_e32 v113, 16, v51
	v_lshrrev_b32_e32 v111, 16, v52
	;; [unrolled: 3-line block ×3, first 2 shown]
	s_waitcnt lgkmcnt(0)
	v_lshrrev_b32_e32 v110, 16, v108
.LBB0_17:
	s_or_b64 exec, exec, s[4:5]
	v_add_u32_e32 v2, -8, v68
	v_mad_u64_u32 v[0:1], s[4:5], v68, 24, s[2:3]
	v_cndmask_b32_e32 v2, v2, v29, vcc
	v_mul_hi_i32_i24_e32 v29, 24, v2
	v_mul_i32_i24_e32 v2, 24, v2
	v_mov_b32_e32 v3, s3
	v_add_co_u32_e64 v114, s[2:3], s2, v2
	v_addc_co_u32_e64 v115, s[2:3], v3, v29, s[2:3]
	global_load_dwordx4 v[16:19], v[0:1], off offset:472
	global_load_dwordx2 v[31:32], v[0:1], off offset:488
	global_load_dwordx4 v[20:23], v[0:1], off offset:1816
	global_load_dwordx2 v[33:34], v[0:1], off offset:1832
	s_nop 0
	global_load_dwordx4 v[0:3], v[114:115], off offset:472
	global_load_dwordx2 v[29:30], v[114:115], off offset:488
	s_waitcnt lgkmcnt(5)
	v_lshrrev_b32_e32 v114, 16, v39
	s_waitcnt lgkmcnt(4)
	v_lshrrev_b32_e32 v115, 16, v41
	;; [unrolled: 2-line block ×4, first 2 shown]
	v_lshrrev_b32_e32 v116, 16, v43
	v_lshrrev_b32_e32 v117, 16, v45
	;; [unrolled: 1-line block ×6, first 2 shown]
	s_movk_i32 s2, 0x2b26
	s_movk_i32 s3, 0x3b00
	s_mov_b32 s4, 0xbcab
	s_movk_i32 s5, 0x39e0
	s_mov_b32 s14, 0xb9e0
	;; [unrolled: 2-line block ×3, first 2 shown]
	v_lshrrev_b32_e32 v122, 16, v44
	v_lshrrev_b32_e32 v123, 16, v46
	s_movk_i32 s17, 0x370e
	s_waitcnt vmcnt(5)
	v_mul_f16_sdwa v126, v114, v16 dst_sel:DWORD dst_unused:UNUSED_PAD src0_sel:DWORD src1_sel:WORD_1
	v_mul_f16_sdwa v127, v39, v16 dst_sel:DWORD dst_unused:UNUSED_PAD src0_sel:DWORD src1_sel:WORD_1
	v_fma_f16 v39, v39, v16, -v126
	s_waitcnt vmcnt(1)
	v_mul_f16_sdwa v154, v111, v2 dst_sel:DWORD dst_unused:UNUSED_PAD src0_sel:DWORD src1_sel:WORD_1
	v_fma_f16 v126, v52, v2, -v154
	v_mul_f16_sdwa v52, v52, v2 dst_sel:DWORD dst_unused:UNUSED_PAD src0_sel:DWORD src1_sel:WORD_1
	v_fma_f16 v52, v111, v2, v52
	v_mul_f16_sdwa v111, v112, v3 dst_sel:DWORD dst_unused:UNUSED_PAD src0_sel:DWORD src1_sel:WORD_1
	v_fma_f16 v111, v53, v3, -v111
	v_mul_f16_sdwa v53, v53, v3 dst_sel:DWORD dst_unused:UNUSED_PAD src0_sel:DWORD src1_sel:WORD_1
	v_fma_f16 v53, v112, v3, v53
	s_waitcnt vmcnt(0)
	v_mul_f16_sdwa v112, v109, v29 dst_sel:DWORD dst_unused:UNUSED_PAD src0_sel:DWORD src1_sel:WORD_1
	v_fma_f16 v112, v54, v29, -v112
	v_mul_f16_sdwa v54, v54, v29 dst_sel:DWORD dst_unused:UNUSED_PAD src0_sel:DWORD src1_sel:WORD_1
	v_mul_f16_sdwa v128, v115, v17 dst_sel:DWORD dst_unused:UNUSED_PAD src0_sel:DWORD src1_sel:WORD_1
	;; [unrolled: 1-line block ×7, first 2 shown]
	v_fma_f16 v54, v109, v29, v54
	v_mul_f16_sdwa v109, v110, v30 dst_sel:DWORD dst_unused:UNUSED_PAD src0_sel:DWORD src1_sel:WORD_1
	v_mul_f16_sdwa v130, v116, v18 dst_sel:DWORD dst_unused:UNUSED_PAD src0_sel:DWORD src1_sel:WORD_1
	;; [unrolled: 1-line block ×5, first 2 shown]
	v_fma_f16 v114, v114, v16, v127
	v_fma_f16 v41, v41, v17, -v128
	v_fma_f16 v115, v115, v17, v129
	v_fma_f16 v47, v47, v31, -v134
	;; [unrolled: 2-line block ×4, first 2 shown]
	v_mul_f16_sdwa v108, v108, v30 dst_sel:DWORD dst_unused:UNUSED_PAD src0_sel:DWORD src1_sel:WORD_1
	v_fma_f16 v43, v43, v18, -v130
	v_fma_f16 v116, v116, v18, v131
	v_fma_f16 v45, v45, v19, -v132
	v_fma_f16 v117, v117, v19, v133
	v_fma_f16 v108, v110, v30, v108
	v_add_f16_e32 v110, v39, v49
	v_add_f16_e32 v127, v114, v119
	v_sub_f16_e32 v39, v39, v49
	v_sub_f16_e32 v49, v114, v119
	v_add_f16_e32 v114, v41, v47
	v_add_f16_e32 v119, v115, v118
	v_sub_f16_e32 v41, v41, v47
	v_sub_f16_e32 v47, v115, v118
	;; [unrolled: 4-line block ×4, first 2 shown]
	v_sub_f16_e32 v110, v110, v115
	v_sub_f16_e32 v127, v127, v118
	;; [unrolled: 1-line block ×4, first 2 shown]
	v_add_f16_e32 v130, v43, v41
	v_add_f16_e32 v131, v45, v47
	v_sub_f16_e32 v132, v43, v41
	v_sub_f16_e32 v133, v45, v47
	;; [unrolled: 1-line block ×4, first 2 shown]
	v_add_f16_e32 v115, v115, v116
	v_add_f16_e32 v116, v118, v117
	v_sub_f16_e32 v43, v39, v43
	v_sub_f16_e32 v45, v49, v45
	v_add_f16_e32 v39, v130, v39
	v_add_f16_e32 v49, v131, v49
	;; [unrolled: 1-line block ×3, first 2 shown]
	v_add_f16_sdwa v118, v37, v116 dst_sel:DWORD dst_unused:UNUSED_PAD src0_sel:WORD_1 src1_sel:DWORD
	v_mul_f16_e32 v37, 0x3a52, v110
	v_mul_f16_e32 v110, 0x3a52, v127
	;; [unrolled: 1-line block ×8, first 2 shown]
	v_mul_f16_sdwa v138, v120, v20 dst_sel:DWORD dst_unused:UNUSED_PAD src0_sel:DWORD src1_sel:WORD_1
	v_mul_f16_sdwa v139, v40, v20 dst_sel:DWORD dst_unused:UNUSED_PAD src0_sel:DWORD src1_sel:WORD_1
	;; [unrolled: 1-line block ×8, first 2 shown]
	v_fma_f16 v115, v115, s4, v117
	v_fma_f16 v116, v116, s4, v118
	;; [unrolled: 1-line block ×4, first 2 shown]
	v_fma_f16 v127, v128, s5, -v127
	v_fma_f16 v130, v129, s5, -v130
	;; [unrolled: 1-line block ×4, first 2 shown]
	v_fma_f16 v128, v43, s15, v131
	v_fma_f16 v129, v45, s15, v132
	v_fma_f16 v41, v41, s3, -v131
	v_fma_f16 v43, v43, s16, -v133
	;; [unrolled: 1-line block ×3, first 2 shown]
	v_mul_f16_sdwa v142, v122, v22 dst_sel:DWORD dst_unused:UNUSED_PAD src0_sel:DWORD src1_sel:WORD_1
	v_mul_f16_sdwa v143, v44, v22 dst_sel:DWORD dst_unused:UNUSED_PAD src0_sel:DWORD src1_sel:WORD_1
	;; [unrolled: 1-line block ×4, first 2 shown]
	v_fma_f16 v40, v40, v20, -v138
	v_fma_f16 v120, v120, v20, v139
	v_fma_f16 v42, v42, v21, -v140
	v_fma_f16 v121, v121, v21, v141
	;; [unrolled: 2-line block ×4, first 2 shown]
	v_fma_f16 v47, v47, s3, -v132
	v_add_f16_e32 v114, v114, v115
	v_add_f16_e32 v119, v119, v116
	;; [unrolled: 1-line block ×6, first 2 shown]
	v_fma_f16 v115, v39, s17, v128
	v_fma_f16 v116, v49, s17, v129
	;; [unrolled: 1-line block ×5, first 2 shown]
	v_fma_f16 v44, v44, v22, -v142
	v_fma_f16 v122, v122, v22, v143
	v_fma_f16 v46, v46, v23, -v144
	v_fma_f16 v123, v123, v23, v145
	v_fma_f16 v47, v49, s17, v47
	v_add_f16_e32 v45, v116, v114
	v_sub_f16_e32 v49, v119, v115
	v_add_f16_e32 v128, v43, v37
	v_sub_f16_e32 v129, v110, v39
	v_sub_f16_e32 v43, v37, v43
	v_add_f16_e32 v39, v39, v110
	v_sub_f16_e32 v114, v114, v116
	v_add_f16_e32 v115, v115, v119
	v_add_f16_e32 v37, v40, v50
	;; [unrolled: 1-line block ×5, first 2 shown]
	v_sub_f16_e32 v40, v40, v50
	v_sub_f16_e32 v50, v120, v125
	;; [unrolled: 1-line block ×4, first 2 shown]
	v_add_f16_e32 v120, v44, v46
	v_add_f16_e32 v121, v122, v123
	v_sub_f16_e32 v44, v46, v44
	v_sub_f16_e32 v46, v123, v122
	v_add_f16_e32 v122, v116, v37
	v_add_f16_e32 v123, v119, v110
	v_sub_f16_e32 v131, v127, v47
	v_add_f16_e32 v132, v41, v130
	v_add_f16_e32 v47, v47, v127
	v_sub_f16_e32 v41, v130, v41
	v_sub_f16_e32 v124, v116, v37
	;; [unrolled: 1-line block ×7, first 2 shown]
	v_add_f16_e32 v127, v44, v42
	v_add_f16_e32 v130, v46, v48
	v_sub_f16_e32 v133, v44, v42
	v_sub_f16_e32 v134, v46, v48
	;; [unrolled: 1-line block ×4, first 2 shown]
	v_add_f16_e32 v120, v120, v122
	v_add_f16_e32 v121, v121, v123
	v_sub_f16_e32 v44, v40, v44
	v_sub_f16_e32 v46, v50, v46
	v_add_f16_e32 v40, v127, v40
	v_add_f16_e32 v50, v130, v50
	v_add_f16_e32 v122, v38, v120
	v_add_f16_sdwa v123, v38, v121 dst_sel:DWORD dst_unused:UNUSED_PAD src0_sel:WORD_1 src1_sel:DWORD
	v_mul_f16_e32 v37, 0x3a52, v37
	v_mul_f16_e32 v38, 0x3a52, v110
	;; [unrolled: 1-line block ×8, first 2 shown]
	v_mul_f16_sdwa v150, v106, v0 dst_sel:DWORD dst_unused:UNUSED_PAD src0_sel:DWORD src1_sel:WORD_1
	v_mul_f16_sdwa v151, v36, v0 dst_sel:DWORD dst_unused:UNUSED_PAD src0_sel:DWORD src1_sel:WORD_1
	;; [unrolled: 1-line block ×3, first 2 shown]
	v_fma_f16 v120, v120, s4, v122
	v_fma_f16 v121, v121, s4, v123
	;; [unrolled: 1-line block ×4, first 2 shown]
	v_fma_f16 v110, v124, s5, -v110
	v_fma_f16 v127, v125, s5, -v127
	;; [unrolled: 1-line block ×4, first 2 shown]
	v_fma_f16 v124, v44, s15, v130
	v_fma_f16 v125, v46, s15, v133
	v_fma_f16 v42, v42, s3, -v130
	v_fma_f16 v44, v44, s16, -v134
	;; [unrolled: 1-line block ×3, first 2 shown]
	v_mul_f16_sdwa v152, v113, v1 dst_sel:DWORD dst_unused:UNUSED_PAD src0_sel:DWORD src1_sel:WORD_1
	v_fma_f16 v36, v36, v0, -v150
	v_fma_f16 v106, v106, v0, v151
	v_fma_f16 v113, v113, v1, v153
	v_fma_f16 v48, v48, s3, -v133
	v_add_f16_e32 v116, v116, v120
	v_add_f16_e32 v110, v110, v120
	;; [unrolled: 1-line block ×4, first 2 shown]
	v_fma_f16 v120, v40, s17, v124
	v_fma_f16 v42, v40, s17, v42
	;; [unrolled: 1-line block ×4, first 2 shown]
	v_fma_f16 v51, v51, v1, -v152
	v_add_f16_e32 v119, v119, v121
	v_add_f16_e32 v127, v127, v121
	v_fma_f16 v121, v50, s17, v125
	v_fma_f16 v48, v50, s17, v48
	v_add_f16_e32 v124, v44, v37
	v_sub_f16_e32 v125, v38, v40
	v_sub_f16_e32 v44, v37, v44
	v_add_f16_e32 v40, v40, v38
	v_add_f16_e32 v37, v36, v109
	;; [unrolled: 1-line block ×3, first 2 shown]
	v_sub_f16_e32 v36, v36, v109
	v_add_f16_e32 v109, v113, v54
	v_sub_f16_e32 v130, v110, v48
	v_add_f16_e32 v48, v48, v110
	;; [unrolled: 2-line block ×3, first 2 shown]
	v_sub_f16_e32 v51, v51, v112
	v_sub_f16_e32 v54, v113, v54
	v_add_f16_e32 v110, v126, v111
	v_add_f16_e32 v112, v52, v53
	v_sub_f16_e32 v111, v111, v126
	v_add_f16_e32 v113, v109, v38
	v_add_f16_e32 v46, v121, v116
	v_sub_f16_e32 v116, v116, v121
	v_sub_f16_e32 v52, v53, v52
	v_add_f16_e32 v53, v108, v37
	v_sub_f16_e32 v121, v109, v38
	v_sub_f16_e32 v38, v38, v112
	;; [unrolled: 1-line block ×4, first 2 shown]
	v_add_f16_e32 v112, v112, v113
	v_sub_f16_e32 v50, v119, v120
	v_add_f16_e32 v133, v42, v127
	v_sub_f16_e32 v42, v127, v42
	;; [unrolled: 2-line block ×3, first 2 shown]
	v_sub_f16_e32 v37, v37, v110
	v_add_f16_e32 v126, v111, v51
	v_add_f16_e32 v127, v52, v54
	v_sub_f16_e32 v135, v52, v54
	v_sub_f16_e32 v136, v36, v111
	;; [unrolled: 1-line block ×4, first 2 shown]
	v_add_f16_e32 v53, v110, v53
	v_add_f16_e32 v111, v107, v112
	v_mul_f16_e32 v107, 0x2b26, v109
	v_mul_f16_e32 v113, 0xb846, v134
	v_sub_f16_e32 v108, v110, v108
	v_sub_f16_e32 v52, v106, v52
	v_add_f16_e32 v36, v126, v36
	v_add_f16_e32 v106, v127, v106
	v_add_f16_e32 v110, v35, v53
	v_mul_f16_e32 v35, 0x3a52, v37
	v_mul_f16_e32 v37, 0x3a52, v38
	;; [unrolled: 1-line block ×5, first 2 shown]
	v_fma_f16 v112, v112, s4, v111
	v_fma_f16 v107, v121, s5, -v107
	v_fma_f16 v51, v51, s3, -v113
	v_pack_b32_f16 v45, v45, v49
	v_pack_b32_f16 v39, v43, v39
	v_mul_f16_e32 v38, 0x2b26, v108
	v_fma_f16 v109, v109, s2, v37
	v_fma_f16 v37, v121, s14, -v37
	v_fma_f16 v121, v52, s15, v126
	v_fma_f16 v54, v54, s3, -v126
	v_fma_f16 v52, v52, s16, -v134
	v_add_f16_e32 v107, v107, v112
	v_fma_f16 v51, v36, s17, v51
	ds_write_b32 v55, v45 offset:480
	v_pack_b32_f16 v45, v128, v129
	ds_write_b32 v55, v39 offset:2400
	v_pack_b32_f16 v39, v114, v115
	v_fma_f16 v108, v108, s2, v35
	v_fma_f16 v38, v120, s5, -v38
	v_fma_f16 v35, v120, s14, -v35
	v_fma_f16 v120, v136, s15, v113
	v_fma_f16 v113, v136, s16, -v127
	v_add_f16_e32 v127, v37, v112
	v_fma_f16 v121, v106, s17, v121
	v_fma_f16 v37, v106, s17, v54
	;; [unrolled: 1-line block ×3, first 2 shown]
	v_add_f16_e32 v106, v51, v107
	v_sub_f16_e32 v107, v107, v51
	v_pack_b32_f16 v51, v117, v118
	ds_write_b32 v55, v45 offset:960
	v_pack_b32_f16 v45, v131, v132
	v_pack_b32_f16 v41, v47, v41
	ds_write_b32 v55, v39 offset:2880
	v_pack_b32_f16 v39, v122, v123
	ds_write_b32 v55, v45 offset:1440
	ds_write_b32 v55, v41 offset:1920
	ds_write2_b32 v55, v51, v39 offset1:56
	v_pack_b32_f16 v39, v46, v50
	ds_write_b32 v55, v39 offset:704
	v_pack_b32_f16 v39, v124, v125
	ds_write_b32 v55, v39 offset:1184
	v_pack_b32_f16 v39, v130, v133
	v_fma_f16 v53, v53, s4, v110
	ds_write_b32 v55, v39 offset:1664
	v_pack_b32_f16 v39, v48, v42
	v_add_f16_e32 v108, v108, v53
	v_add_f16_e32 v109, v109, v112
	;; [unrolled: 1-line block ×4, first 2 shown]
	v_fma_f16 v120, v36, s17, v120
	v_fma_f16 v54, v36, s17, v113
	ds_write_b32 v55, v39 offset:2144
	v_pack_b32_f16 v39, v44, v40
	v_add_f16_e32 v112, v121, v108
	v_sub_f16_e32 v113, v109, v120
	v_add_f16_e32 v35, v52, v126
	v_sub_f16_e32 v53, v127, v54
	v_sub_f16_e32 v36, v38, v37
	v_add_f16_e32 v37, v37, v38
	v_sub_f16_e32 v38, v126, v52
	v_add_f16_e32 v54, v54, v127
	;; [unrolled: 2-line block ×3, first 2 shown]
	ds_write_b32 v55, v39 offset:2624
	v_pack_b32_f16 v39, v116, v119
	ds_write_b32 v55, v39 offset:3104
	s_and_saveexec_b64 s[2:3], vcc
	s_cbranch_execz .LBB0_19
; %bb.18:
	s_mov_b32 s4, 0x5040100
	v_perm_b32 v39, v111, v110, s4
	v_perm_b32 v40, v113, v112, s4
	ds_write2_b32 v55, v39, v40 offset0:112 offset1:232
	v_perm_b32 v39, v53, v35, s4
	v_perm_b32 v40, v106, v36, s4
	v_add_u32_e32 v41, 0x400, v55
	ds_write2_b32 v41, v39, v40 offset0:96 offset1:216
	v_perm_b32 v39, v107, v37, s4
	v_perm_b32 v40, v54, v38, s4
	v_add_u32_e32 v41, 0x800, v55
	ds_write2_b32 v41, v39, v40 offset0:80 offset1:200
	v_perm_b32 v39, v109, v108, s4
	ds_write_b32 v55, v39 offset:3328
.LBB0_19:
	s_or_b64 exec, exec, s[2:3]
	s_waitcnt lgkmcnt(0)
	; wave barrier
	s_waitcnt lgkmcnt(0)
	global_load_dword v40, v[24:25], off offset:3360
	s_add_u32 s2, s12, 0xd20
	s_addc_u32 s3, s13, 0
	global_load_dword v45, v55, s[2:3] offset:224
	global_load_dword v52, v55, s[2:3] offset:1680
	;; [unrolled: 1-line block ×10, first 2 shown]
	ds_read2_b32 v[43:44], v55 offset1:56
	global_load_dword v124, v55, s[2:3] offset:1344
	global_load_dword v125, v55, s[2:3] offset:2800
	;; [unrolled: 1-line block ×3, first 2 shown]
	v_add_u32_e32 v39, 0x400, v55
	v_add_u32_e32 v42, 0x600, v55
	;; [unrolled: 1-line block ×3, first 2 shown]
	s_waitcnt lgkmcnt(0)
	v_lshrrev_b32_e32 v46, 16, v43
	v_lshrrev_b32_e32 v47, 16, v44
	v_add_u32_e32 v41, 0x200, v55
	s_waitcnt vmcnt(13)
	v_mul_f16_sdwa v48, v46, v40 dst_sel:DWORD dst_unused:UNUSED_PAD src0_sel:DWORD src1_sel:WORD_1
	v_mul_f16_sdwa v49, v43, v40 dst_sel:DWORD dst_unused:UNUSED_PAD src0_sel:DWORD src1_sel:WORD_1
	v_fma_f16 v43, v43, v40, -v48
	v_fma_f16 v40, v46, v40, v49
	v_pack_b32_f16 v40, v43, v40
	s_waitcnt vmcnt(12)
	v_mul_f16_sdwa v43, v47, v45 dst_sel:DWORD dst_unused:UNUSED_PAD src0_sel:DWORD src1_sel:WORD_1
	v_mul_f16_sdwa v46, v44, v45 dst_sel:DWORD dst_unused:UNUSED_PAD src0_sel:DWORD src1_sel:WORD_1
	ds_write_b32 v55, v40
	v_fma_f16 v40, v44, v45, -v43
	v_fma_f16 v45, v47, v45, v46
	ds_read2_b32 v[43:44], v39 offset0:80 offset1:164
	v_pack_b32_f16 v40, v40, v45
	ds_read2_b32 v[45:46], v42 offset0:92 offset1:148
	ds_read2_b32 v[47:48], v55 offset0:112 offset1:168
	;; [unrolled: 1-line block ×4, first 2 shown]
	s_waitcnt lgkmcnt(3)
	v_lshrrev_b32_e32 v129, 16, v45
	v_lshrrev_b32_e32 v127, 16, v44
	s_waitcnt vmcnt(11)
	v_mul_f16_sdwa v128, v44, v52 dst_sel:DWORD dst_unused:UNUSED_PAD src0_sel:DWORD src1_sel:WORD_1
	s_waitcnt vmcnt(10)
	v_mul_f16_sdwa v130, v45, v116 dst_sel:DWORD dst_unused:UNUSED_PAD src0_sel:DWORD src1_sel:WORD_1
	s_waitcnt lgkmcnt(2)
	v_lshrrev_b32_e32 v131, 16, v47
	s_waitcnt vmcnt(9)
	v_mul_f16_sdwa v132, v47, v117 dst_sel:DWORD dst_unused:UNUSED_PAD src0_sel:DWORD src1_sel:WORD_1
	v_lshrrev_b32_e32 v133, 16, v46
	s_waitcnt vmcnt(8)
	v_mul_f16_sdwa v134, v46, v118 dst_sel:DWORD dst_unused:UNUSED_PAD src0_sel:DWORD src1_sel:WORD_1
	v_lshrrev_b32_e32 v135, 16, v48
	s_waitcnt vmcnt(7)
	v_mul_f16_sdwa v136, v48, v119 dst_sel:DWORD dst_unused:UNUSED_PAD src0_sel:DWORD src1_sel:WORD_1
	s_waitcnt lgkmcnt(1)
	v_lshrrev_b32_e32 v137, 16, v49
	s_waitcnt vmcnt(6)
	v_mul_f16_sdwa v138, v49, v120 dst_sel:DWORD dst_unused:UNUSED_PAD src0_sel:DWORD src1_sel:WORD_1
	s_waitcnt lgkmcnt(0)
	v_lshrrev_b32_e32 v139, 16, v114
	v_mul_f16_sdwa v144, v127, v52 dst_sel:DWORD dst_unused:UNUSED_PAD src0_sel:DWORD src1_sel:WORD_1
	v_fma_f16 v127, v127, v52, v128
	v_mul_f16_sdwa v128, v129, v116 dst_sel:DWORD dst_unused:UNUSED_PAD src0_sel:DWORD src1_sel:WORD_1
	s_waitcnt vmcnt(5)
	v_mul_f16_sdwa v140, v114, v121 dst_sel:DWORD dst_unused:UNUSED_PAD src0_sel:DWORD src1_sel:WORD_1
	v_fma_f16 v129, v129, v116, v130
	v_mul_f16_sdwa v130, v131, v117 dst_sel:DWORD dst_unused:UNUSED_PAD src0_sel:DWORD src1_sel:WORD_1
	v_fma_f16 v131, v131, v117, v132
	;; [unrolled: 2-line block ×5, first 2 shown]
	v_mul_f16_sdwa v138, v139, v121 dst_sel:DWORD dst_unused:UNUSED_PAD src0_sel:DWORD src1_sel:WORD_1
	v_fma_f16 v44, v44, v52, -v144
	v_fma_f16 v45, v45, v116, -v128
	v_fma_f16 v139, v139, v121, v140
	v_fma_f16 v47, v47, v117, -v130
	v_fma_f16 v46, v46, v118, -v132
	v_fma_f16 v48, v48, v119, -v134
	v_fma_f16 v49, v49, v120, -v136
	v_fma_f16 v52, v114, v121, -v138
	v_pack_b32_f16 v44, v44, v127
	v_pack_b32_f16 v45, v45, v129
	;; [unrolled: 1-line block ×7, first 2 shown]
	ds_write2_b32 v39, v44, v45 offset0:164 offset1:220
	ds_write2_b32 v55, v40, v47 offset0:56 offset1:112
	;; [unrolled: 1-line block ×4, first 2 shown]
	ds_read2_b32 v[44:45], v51 offset0:188 offset1:244
	v_lshrrev_b32_e32 v143, 16, v115
	s_waitcnt vmcnt(3)
	v_mul_f16_sdwa v40, v143, v123 dst_sel:DWORD dst_unused:UNUSED_PAD src0_sel:DWORD src1_sel:WORD_1
	v_mul_f16_sdwa v46, v115, v123 dst_sel:DWORD dst_unused:UNUSED_PAD src0_sel:DWORD src1_sel:WORD_1
	v_fma_f16 v40, v115, v123, -v40
	v_fma_f16 v46, v143, v123, v46
	v_pack_b32_f16 v40, v40, v46
	s_waitcnt lgkmcnt(0)
	v_lshrrev_b32_e32 v46, 16, v44
	v_lshrrev_b32_e32 v141, 16, v50
	s_waitcnt vmcnt(1)
	v_mul_f16_sdwa v47, v46, v125 dst_sel:DWORD dst_unused:UNUSED_PAD src0_sel:DWORD src1_sel:WORD_1
	v_mul_f16_sdwa v142, v50, v122 dst_sel:DWORD dst_unused:UNUSED_PAD src0_sel:DWORD src1_sel:WORD_1
	;; [unrolled: 1-line block ×3, first 2 shown]
	v_fma_f16 v47, v44, v125, -v47
	v_mul_f16_sdwa v44, v44, v125 dst_sel:DWORD dst_unused:UNUSED_PAD src0_sel:DWORD src1_sel:WORD_1
	v_fma_f16 v141, v141, v122, v142
	v_fma_f16 v50, v50, v122, -v140
	v_fma_f16 v44, v46, v125, v44
	v_pack_b32_f16 v50, v50, v141
	v_pack_b32_f16 v44, v47, v44
	ds_write2_b32 v51, v50, v44 offset0:132 offset1:188
	v_lshrrev_b32_e32 v44, 16, v43
	v_mul_f16_sdwa v46, v44, v124 dst_sel:DWORD dst_unused:UNUSED_PAD src0_sel:DWORD src1_sel:WORD_1
	v_fma_f16 v46, v43, v124, -v46
	v_mul_f16_sdwa v43, v43, v124 dst_sel:DWORD dst_unused:UNUSED_PAD src0_sel:DWORD src1_sel:WORD_1
	v_fma_f16 v43, v44, v124, v43
	v_pack_b32_f16 v43, v46, v43
	ds_write2_b32 v39, v40, v43 offset0:24 offset1:80
	v_lshrrev_b32_e32 v40, 16, v45
	s_waitcnt vmcnt(0)
	v_mul_f16_sdwa v43, v40, v126 dst_sel:DWORD dst_unused:UNUSED_PAD src0_sel:DWORD src1_sel:WORD_1
	v_mul_f16_sdwa v44, v45, v126 dst_sel:DWORD dst_unused:UNUSED_PAD src0_sel:DWORD src1_sel:WORD_1
	v_fma_f16 v43, v45, v126, -v43
	v_fma_f16 v40, v40, v126, v44
	v_pack_b32_f16 v40, v43, v40
	ds_write_b32 v55, v40 offset:3024
	s_and_saveexec_b64 s[4:5], s[0:1]
	s_cbranch_execz .LBB0_21
; %bb.20:
	v_mov_b32_e32 v40, s3
	v_add_co_u32_e64 v43, s[2:3], s2, v55
	v_addc_co_u32_e64 v44, s[2:3], 0, v40, s[2:3]
	global_load_dword v40, v[43:44], off offset:1568
	global_load_dword v45, v[43:44], off offset:3248
	ds_read_b32 v43, v55 offset:1568
	ds_read_b32 v44, v55 offset:3248
	s_waitcnt lgkmcnt(1)
	v_lshrrev_b32_e32 v46, 16, v43
	s_waitcnt lgkmcnt(0)
	v_lshrrev_b32_e32 v47, 16, v44
	s_waitcnt vmcnt(1)
	v_mul_f16_sdwa v48, v46, v40 dst_sel:DWORD dst_unused:UNUSED_PAD src0_sel:DWORD src1_sel:WORD_1
	v_mul_f16_sdwa v49, v43, v40 dst_sel:DWORD dst_unused:UNUSED_PAD src0_sel:DWORD src1_sel:WORD_1
	s_waitcnt vmcnt(0)
	v_mul_f16_sdwa v50, v47, v45 dst_sel:DWORD dst_unused:UNUSED_PAD src0_sel:DWORD src1_sel:WORD_1
	v_mul_f16_sdwa v52, v44, v45 dst_sel:DWORD dst_unused:UNUSED_PAD src0_sel:DWORD src1_sel:WORD_1
	v_fma_f16 v43, v43, v40, -v48
	v_fma_f16 v40, v46, v40, v49
	v_fma_f16 v44, v44, v45, -v50
	v_fma_f16 v45, v47, v45, v52
	v_pack_b32_f16 v40, v43, v40
	v_pack_b32_f16 v43, v44, v45
	ds_write_b32 v55, v40 offset:1568
	ds_write_b32 v55, v43 offset:3248
.LBB0_21:
	s_or_b64 exec, exec, s[4:5]
	s_waitcnt lgkmcnt(0)
	; wave barrier
	s_waitcnt lgkmcnt(0)
	ds_read2_b32 v[45:46], v55 offset1:56
	ds_read2_b32 v[39:40], v39 offset0:80 offset1:164
	ds_read2_b32 v[47:48], v42 offset0:92 offset1:148
	;; [unrolled: 1-line block ×6, first 2 shown]
	v_lshlrev_b32_e32 v115, 2, v80
	v_lshlrev_b32_e32 v114, 2, v81
	s_and_saveexec_b64 s[2:3], s[0:1]
	s_cbranch_execz .LBB0_23
; %bb.22:
	ds_read_b32 v110, v55 offset:1568
	ds_read_b32 v112, v55 offset:3248
	s_waitcnt lgkmcnt(1)
	v_lshrrev_b32_e32 v111, 16, v110
	s_waitcnt lgkmcnt(0)
	v_lshrrev_b32_e32 v113, 16, v112
.LBB0_23:
	s_or_b64 exec, exec, s[2:3]
	s_waitcnt lgkmcnt(5)
	v_pk_add_f16 v117, v45, v40 neg_lo:[0,1] neg_hi:[0,1]
	s_waitcnt lgkmcnt(4)
	v_pk_add_f16 v47, v46, v47 neg_lo:[0,1] neg_hi:[0,1]
	;; [unrolled: 2-line block ×3, first 2 shown]
	v_pk_fma_f16 v116, v45, 2.0, v117 op_sel_hi:[1,0,1] neg_lo:[0,0,1] neg_hi:[0,0,1]
	v_pk_fma_f16 v46, v46, 2.0, v47 op_sel_hi:[1,0,1] neg_lo:[0,0,1] neg_hi:[0,0,1]
	s_waitcnt lgkmcnt(2)
	v_pk_add_f16 v49, v44, v49 neg_lo:[0,1] neg_hi:[0,1]
	s_waitcnt lgkmcnt(0)
	; wave barrier
	s_waitcnt lgkmcnt(0)
	ds_write_b64 v73, v[116:117]
	ds_write_b64 v74, v[46:47]
	v_pk_fma_f16 v47, v43, 2.0, v48 op_sel_hi:[1,0,1] neg_lo:[0,0,1] neg_hi:[0,0,1]
	v_pk_add_f16 v50, v41, v50 neg_lo:[0,1] neg_hi:[0,1]
	ds_write_b64 v75, v[47:48]
	v_pk_fma_f16 v48, v44, 2.0, v49 op_sel_hi:[1,0,1] neg_lo:[0,0,1] neg_hi:[0,0,1]
	v_pk_add_f16 v51, v42, v51 neg_lo:[0,1] neg_hi:[0,1]
	v_pk_add_f16 v40, v39, v52 neg_lo:[0,1] neg_hi:[0,1]
	v_sub_f16_e32 v112, v110, v112
	v_sub_f16_e32 v113, v111, v113
	ds_write_b64 v77, v[48:49]
	v_pk_fma_f16 v49, v41, 2.0, v50 op_sel_hi:[1,0,1] neg_lo:[0,0,1] neg_hi:[0,0,1]
	v_fma_f16 v80, v110, 2.0, -v112
	v_fma_f16 v81, v111, 2.0, -v113
	ds_write_b64 v78, v[49:50]
	v_pk_fma_f16 v50, v42, 2.0, v51 op_sel_hi:[1,0,1] neg_lo:[0,0,1] neg_hi:[0,0,1]
	v_pk_fma_f16 v39, v39, 2.0, v40 op_sel_hi:[1,0,1] neg_lo:[0,0,1] neg_hi:[0,0,1]
	ds_write_b64 v115, v[50:51]
	ds_write_b64 v114, v[39:40]
	s_and_saveexec_b64 s[2:3], s[0:1]
	s_cbranch_execz .LBB0_25
; %bb.24:
	s_mov_b32 s4, 0x5040100
	v_perm_b32 v40, v113, v112, s4
	v_perm_b32 v39, v81, v80, s4
	ds_write_b64 v76, v[39:40]
.LBB0_25:
	s_or_b64 exec, exec, s[2:3]
	v_add_u32_e32 v39, 0x400, v55
	v_add_u32_e32 v41, 0x600, v55
	s_waitcnt lgkmcnt(0)
	; wave barrier
	s_waitcnt lgkmcnt(0)
	ds_read2_b32 v[43:44], v55 offset1:56
	ds_read2_b32 v[39:40], v39 offset0:80 offset1:164
	ds_read2_b32 v[51:52], v41 offset0:92 offset1:148
	;; [unrolled: 1-line block ×3, first 2 shown]
	v_add_u32_e32 v47, 0x800, v55
	v_add_u32_e32 v41, 0x200, v55
	ds_read2_b32 v[49:50], v47 offset0:76 offset1:132
	ds_read2_b32 v[41:42], v41 offset0:96 offset1:152
	;; [unrolled: 1-line block ×3, first 2 shown]
	s_and_saveexec_b64 s[2:3], s[0:1]
	s_cbranch_execz .LBB0_27
; %bb.26:
	ds_read_b32 v80, v55 offset:1568
	ds_read_b32 v112, v55 offset:3248
	s_waitcnt lgkmcnt(1)
	v_lshrrev_b32_e32 v81, 16, v80
	s_waitcnt lgkmcnt(0)
	v_lshrrev_b32_e32 v113, 16, v112
.LBB0_27:
	s_or_b64 exec, exec, s[2:3]
	s_waitcnt lgkmcnt(5)
	v_lshrrev_b32_e32 v74, 16, v40
	v_mul_f16_sdwa v120, v72, v74 dst_sel:DWORD dst_unused:UNUSED_PAD src0_sel:WORD_1 src1_sel:DWORD
	s_waitcnt lgkmcnt(4)
	v_lshrrev_b32_e32 v76, 16, v51
	v_fma_f16 v120, v72, v40, v120
	v_mul_f16_sdwa v40, v72, v40 dst_sel:DWORD dst_unused:UNUSED_PAD src0_sel:WORD_1 src1_sel:DWORD
	v_fma_f16 v40, v72, v74, -v40
	v_mul_f16_sdwa v74, v72, v76 dst_sel:DWORD dst_unused:UNUSED_PAD src0_sel:WORD_1 src1_sel:DWORD
	v_lshrrev_b32_e32 v78, 16, v52
	v_fma_f16 v74, v72, v51, v74
	v_mul_f16_sdwa v51, v72, v51 dst_sel:DWORD dst_unused:UNUSED_PAD src0_sel:WORD_1 src1_sel:DWORD
	v_fma_f16 v51, v72, v76, -v51
	v_mul_f16_sdwa v76, v72, v78 dst_sel:DWORD dst_unused:UNUSED_PAD src0_sel:WORD_1 src1_sel:DWORD
	s_waitcnt lgkmcnt(2)
	v_lshrrev_b32_e32 v111, 16, v49
	v_fma_f16 v76, v72, v52, v76
	v_mul_f16_sdwa v52, v72, v52 dst_sel:DWORD dst_unused:UNUSED_PAD src0_sel:WORD_1 src1_sel:DWORD
	v_fma_f16 v52, v72, v78, -v52
	v_mul_f16_sdwa v78, v72, v111 dst_sel:DWORD dst_unused:UNUSED_PAD src0_sel:WORD_1 src1_sel:DWORD
	v_lshrrev_b32_e32 v115, 16, v50
	v_fma_f16 v78, v72, v49, v78
	v_mul_f16_sdwa v49, v72, v49 dst_sel:DWORD dst_unused:UNUSED_PAD src0_sel:WORD_1 src1_sel:DWORD
	v_fma_f16 v49, v72, v111, -v49
	;; [unrolled: 11-line block ×3, first 2 shown]
	v_mul_f16_sdwa v117, v72, v119 dst_sel:DWORD dst_unused:UNUSED_PAD src0_sel:WORD_1 src1_sel:DWORD
	v_fma_f16 v117, v72, v48, v117
	v_mul_f16_sdwa v48, v72, v48 dst_sel:DWORD dst_unused:UNUSED_PAD src0_sel:WORD_1 src1_sel:DWORD
	v_fma_f16 v48, v72, v119, -v48
	v_mul_f16_sdwa v119, v72, v113 dst_sel:DWORD dst_unused:UNUSED_PAD src0_sel:WORD_1 src1_sel:DWORD
	v_lshrrev_b32_e32 v73, 16, v43
	v_fma_f16 v119, v72, v112, v119
	v_mul_f16_sdwa v112, v72, v112 dst_sel:DWORD dst_unused:UNUSED_PAD src0_sel:WORD_1 src1_sel:DWORD
	v_lshrrev_b32_e32 v75, 16, v44
	v_fma_f16 v72, v72, v113, -v112
	v_sub_f16_e32 v112, v43, v120
	v_sub_f16_e32 v40, v73, v40
	v_lshrrev_b32_e32 v77, 16, v45
	v_fma_f16 v43, v43, 2.0, -v112
	v_fma_f16 v113, v73, 2.0, -v40
	v_sub_f16_e32 v120, v44, v74
	v_sub_f16_e32 v51, v75, v51
	v_lshrrev_b32_e32 v110, 16, v46
	v_fma_f16 v44, v44, 2.0, -v120
	v_fma_f16 v121, v75, 2.0, -v51
	v_sub_f16_e32 v76, v45, v76
	v_sub_f16_e32 v52, v77, v52
	v_pack_b32_f16 v43, v43, v113
	v_pack_b32_f16 v40, v112, v40
	v_lshrrev_b32_e32 v114, 16, v41
	v_fma_f16 v45, v45, 2.0, -v76
	v_fma_f16 v77, v77, 2.0, -v52
	v_sub_f16_e32 v78, v46, v78
	v_sub_f16_e32 v49, v110, v49
	s_waitcnt lgkmcnt(0)
	; wave barrier
	ds_write2_b32 v83, v43, v40 offset1:2
	v_pack_b32_f16 v40, v44, v121
	v_pack_b32_f16 v43, v120, v51
	v_lshrrev_b32_e32 v116, 16, v42
	v_fma_f16 v46, v46, 2.0, -v78
	v_fma_f16 v110, v110, 2.0, -v49
	v_sub_f16_e32 v111, v41, v111
	v_sub_f16_e32 v50, v114, v50
	ds_write2_b32 v84, v40, v43 offset1:2
	v_pack_b32_f16 v40, v45, v77
	v_pack_b32_f16 v43, v76, v52
	v_lshrrev_b32_e32 v118, 16, v39
	v_fma_f16 v41, v41, 2.0, -v111
	v_fma_f16 v114, v114, 2.0, -v50
	v_sub_f16_e32 v115, v42, v115
	v_sub_f16_e32 v47, v116, v47
	ds_write2_b32 v86, v40, v43 offset1:2
	v_pack_b32_f16 v40, v46, v110
	v_pack_b32_f16 v43, v78, v49
	v_fma_f16 v42, v42, 2.0, -v115
	v_fma_f16 v116, v116, 2.0, -v47
	v_sub_f16_e32 v117, v39, v117
	v_sub_f16_e32 v48, v118, v48
	ds_write2_b32 v87, v40, v43 offset1:2
	v_pack_b32_f16 v40, v41, v114
	v_pack_b32_f16 v41, v111, v50
	;; [unrolled: 7-line block ×3, first 2 shown]
	v_fma_f16 v72, v80, 2.0, -v74
	v_fma_f16 v73, v81, 2.0, -v75
	ds_write2_b32 v89, v40, v41 offset1:2
	v_pack_b32_f16 v39, v39, v118
	v_pack_b32_f16 v40, v117, v48
	ds_write2_b32 v90, v39, v40 offset1:2
	s_and_saveexec_b64 s[2:3], s[0:1]
	s_cbranch_execz .LBB0_29
; %bb.28:
	s_movk_i32 s4, 0x37c
	v_and_or_b32 v39, v79, s4, v71
	s_mov_b32 s4, 0x5040100
	v_lshlrev_b32_e32 v39, 2, v39
	v_perm_b32 v40, v73, v72, s4
	v_perm_b32 v41, v75, v74, s4
	ds_write2_b32 v39, v40, v41 offset1:2
.LBB0_29:
	s_or_b64 exec, exec, s[2:3]
	v_add_u32_e32 v39, 0x400, v55
	v_add_u32_e32 v41, 0x600, v55
	s_waitcnt lgkmcnt(0)
	; wave barrier
	s_waitcnt lgkmcnt(0)
	ds_read2_b32 v[43:44], v55 offset1:56
	ds_read2_b32 v[39:40], v39 offset0:80 offset1:164
	ds_read2_b32 v[51:52], v41 offset0:92 offset1:148
	;; [unrolled: 1-line block ×3, first 2 shown]
	v_add_u32_e32 v47, 0x800, v55
	v_add_u32_e32 v41, 0x200, v55
	ds_read2_b32 v[49:50], v47 offset0:76 offset1:132
	ds_read2_b32 v[41:42], v41 offset0:96 offset1:152
	;; [unrolled: 1-line block ×3, first 2 shown]
	s_and_saveexec_b64 s[2:3], s[0:1]
	s_cbranch_execz .LBB0_31
; %bb.30:
	ds_read_b32 v72, v55 offset:1568
	ds_read_b32 v74, v55 offset:3248
	s_waitcnt lgkmcnt(1)
	v_lshrrev_b32_e32 v73, 16, v72
	s_waitcnt lgkmcnt(0)
	v_lshrrev_b32_e32 v75, 16, v74
.LBB0_31:
	s_or_b64 exec, exec, s[2:3]
	s_waitcnt lgkmcnt(5)
	v_lshrrev_b32_e32 v76, 16, v40
	v_mul_f16_sdwa v111, v85, v76 dst_sel:DWORD dst_unused:UNUSED_PAD src0_sel:WORD_1 src1_sel:DWORD
	s_waitcnt lgkmcnt(4)
	v_lshrrev_b32_e32 v78, 16, v51
	v_fma_f16 v111, v85, v40, v111
	v_mul_f16_sdwa v40, v85, v40 dst_sel:DWORD dst_unused:UNUSED_PAD src0_sel:WORD_1 src1_sel:DWORD
	v_fma_f16 v40, v85, v76, -v40
	v_mul_f16_sdwa v76, v85, v78 dst_sel:DWORD dst_unused:UNUSED_PAD src0_sel:WORD_1 src1_sel:DWORD
	v_lshrrev_b32_e32 v81, 16, v52
	v_fma_f16 v76, v85, v51, v76
	v_mul_f16_sdwa v51, v85, v51 dst_sel:DWORD dst_unused:UNUSED_PAD src0_sel:WORD_1 src1_sel:DWORD
	v_fma_f16 v51, v85, v78, -v51
	v_mul_f16_sdwa v78, v85, v81 dst_sel:DWORD dst_unused:UNUSED_PAD src0_sel:WORD_1 src1_sel:DWORD
	s_waitcnt lgkmcnt(2)
	v_lshrrev_b32_e32 v84, 16, v49
	v_fma_f16 v78, v85, v52, v78
	v_mul_f16_sdwa v52, v85, v52 dst_sel:DWORD dst_unused:UNUSED_PAD src0_sel:WORD_1 src1_sel:DWORD
	v_fma_f16 v52, v85, v81, -v52
	v_mul_f16_sdwa v81, v85, v84 dst_sel:DWORD dst_unused:UNUSED_PAD src0_sel:WORD_1 src1_sel:DWORD
	v_lshrrev_b32_e32 v87, 16, v50
	v_fma_f16 v81, v85, v49, v81
	v_mul_f16_sdwa v49, v85, v49 dst_sel:DWORD dst_unused:UNUSED_PAD src0_sel:WORD_1 src1_sel:DWORD
	v_fma_f16 v49, v85, v84, -v49
	v_mul_f16_sdwa v84, v85, v87 dst_sel:DWORD dst_unused:UNUSED_PAD src0_sel:WORD_1 src1_sel:DWORD
	s_waitcnt lgkmcnt(0)
	v_lshrrev_b32_e32 v89, 16, v47
	v_fma_f16 v84, v85, v50, v84
	v_mul_f16_sdwa v50, v85, v50 dst_sel:DWORD dst_unused:UNUSED_PAD src0_sel:WORD_1 src1_sel:DWORD
	v_fma_f16 v50, v85, v87, -v50
	v_mul_f16_sdwa v87, v85, v89 dst_sel:DWORD dst_unused:UNUSED_PAD src0_sel:WORD_1 src1_sel:DWORD
	v_lshrrev_b32_e32 v110, 16, v48
	v_fma_f16 v87, v85, v47, v87
	v_mul_f16_sdwa v47, v85, v47 dst_sel:DWORD dst_unused:UNUSED_PAD src0_sel:WORD_1 src1_sel:DWORD
	v_fma_f16 v47, v85, v89, -v47
	v_mul_f16_sdwa v89, v85, v110 dst_sel:DWORD dst_unused:UNUSED_PAD src0_sel:WORD_1 src1_sel:DWORD
	v_fma_f16 v89, v85, v48, v89
	v_mul_f16_sdwa v48, v85, v48 dst_sel:DWORD dst_unused:UNUSED_PAD src0_sel:WORD_1 src1_sel:DWORD
	v_fma_f16 v48, v85, v110, -v48
	v_mul_f16_sdwa v110, v85, v75 dst_sel:DWORD dst_unused:UNUSED_PAD src0_sel:WORD_1 src1_sel:DWORD
	v_lshrrev_b32_e32 v71, 16, v43
	v_fma_f16 v110, v85, v74, v110
	v_mul_f16_sdwa v74, v85, v74 dst_sel:DWORD dst_unused:UNUSED_PAD src0_sel:WORD_1 src1_sel:DWORD
	v_lshrrev_b32_e32 v77, 16, v44
	v_fma_f16 v74, v85, v75, -v74
	v_sub_f16_e32 v75, v43, v111
	v_sub_f16_e32 v85, v71, v40
	v_lshrrev_b32_e32 v80, 16, v45
	v_fma_f16 v43, v43, 2.0, -v75
	v_fma_f16 v71, v71, 2.0, -v85
	v_sub_f16_e32 v76, v44, v76
	v_sub_f16_e32 v51, v77, v51
	v_lshrrev_b32_e32 v83, 16, v46
	v_fma_f16 v44, v44, 2.0, -v76
	v_fma_f16 v77, v77, 2.0, -v51
	v_sub_f16_e32 v78, v45, v78
	v_sub_f16_e32 v52, v80, v52
	v_pack_b32_f16 v43, v43, v71
	v_pack_b32_f16 v71, v75, v85
	v_lshrrev_b32_e32 v86, 16, v41
	v_fma_f16 v45, v45, 2.0, -v78
	v_fma_f16 v80, v80, 2.0, -v52
	v_sub_f16_e32 v81, v46, v81
	v_sub_f16_e32 v49, v83, v49
	s_waitcnt lgkmcnt(0)
	; wave barrier
	ds_write2_b32 v91, v43, v71 offset1:4
	v_pack_b32_f16 v43, v44, v77
	v_pack_b32_f16 v44, v76, v51
	v_lshrrev_b32_e32 v88, 16, v42
	v_fma_f16 v46, v46, 2.0, -v81
	v_fma_f16 v83, v83, 2.0, -v49
	v_sub_f16_e32 v84, v41, v84
	v_sub_f16_e32 v50, v86, v50
	ds_write2_b32 v92, v43, v44 offset1:4
	v_pack_b32_f16 v43, v45, v80
	v_pack_b32_f16 v44, v78, v52
	v_lshrrev_b32_e32 v90, 16, v39
	v_fma_f16 v111, v41, 2.0, -v84
	v_fma_f16 v86, v86, 2.0, -v50
	v_sub_f16_e32 v87, v42, v87
	v_sub_f16_e32 v47, v88, v47
	ds_write2_b32 v93, v43, v44 offset1:4
	v_pack_b32_f16 v43, v46, v83
	v_pack_b32_f16 v44, v81, v49
	v_fma_f16 v42, v42, 2.0, -v87
	v_fma_f16 v88, v88, 2.0, -v47
	v_sub_f16_e32 v89, v39, v89
	v_sub_f16_e32 v48, v90, v48
	ds_write2_b32 v94, v43, v44 offset1:4
	v_pack_b32_f16 v43, v111, v86
	v_pack_b32_f16 v44, v84, v50
	v_fma_f16 v39, v39, 2.0, -v89
	v_fma_f16 v90, v90, 2.0, -v48
	ds_write2_b32 v95, v43, v44 offset1:4
	v_pack_b32_f16 v42, v42, v88
	v_pack_b32_f16 v43, v87, v47
	v_sub_f16_e32 v40, v72, v110
	v_sub_f16_e32 v41, v73, v74
	ds_write2_b32 v96, v42, v43 offset1:4
	v_pack_b32_f16 v39, v39, v90
	v_pack_b32_f16 v42, v89, v48
	ds_write2_b32 v97, v39, v42 offset1:4
	s_and_saveexec_b64 s[2:3], s[0:1]
	s_cbranch_execz .LBB0_33
; %bb.32:
	s_movk_i32 s4, 0x378
	v_fma_f16 v39, v72, 2.0, -v40
	v_fma_f16 v42, v73, 2.0, -v41
	v_and_or_b32 v43, v79, s4, v82
	s_mov_b32 s4, 0x5040100
	v_lshlrev_b32_e32 v43, 2, v43
	v_pack_b32_f16 v39, v39, v42
	v_perm_b32 v42, v41, v40, s4
	ds_write2_b32 v43, v39, v42 offset1:4
.LBB0_33:
	s_or_b64 exec, exec, s[2:3]
	v_add_u32_e32 v52, 0x200, v55
	s_waitcnt lgkmcnt(0)
	; wave barrier
	s_waitcnt lgkmcnt(0)
	ds_read2_b32 v[46:47], v52 offset0:96 offset1:152
	v_add_u32_e32 v42, 0x800, v55
	ds_read2_b32 v[48:49], v42 offset0:48 offset1:104
	v_add_u32_e32 v43, 0x400, v55
	ds_read2_b32 v[50:51], v43 offset0:80 offset1:136
	s_waitcnt lgkmcnt(2)
	v_lshrrev_b32_e32 v77, 16, v47
	v_mul_f16_sdwa v92, v27, v77 dst_sel:DWORD dst_unused:UNUSED_PAD src0_sel:WORD_1 src1_sel:DWORD
	s_waitcnt lgkmcnt(1)
	v_lshrrev_b32_e32 v78, 16, v48
	v_fma_f16 v92, v27, v47, v92
	v_mul_f16_sdwa v47, v27, v47 dst_sel:DWORD dst_unused:UNUSED_PAD src0_sel:WORD_1 src1_sel:DWORD
	v_fma_f16 v47, v27, v77, -v47
	v_mul_f16_sdwa v77, v28, v78 dst_sel:DWORD dst_unused:UNUSED_PAD src0_sel:WORD_1 src1_sel:DWORD
	s_waitcnt lgkmcnt(0)
	v_lshrrev_b32_e32 v80, 16, v50
	v_fma_f16 v77, v28, v48, v77
	v_mul_f16_sdwa v48, v28, v48 dst_sel:DWORD dst_unused:UNUSED_PAD src0_sel:WORD_1 src1_sel:DWORD
	ds_read2_b32 v[73:74], v42 offset0:160 offset1:216
	v_fma_f16 v48, v28, v78, -v48
	v_mul_f16_sdwa v78, v27, v80 dst_sel:DWORD dst_unused:UNUSED_PAD src0_sel:WORD_1 src1_sel:DWORD
	v_lshrrev_b32_e32 v81, 16, v49
	v_fma_f16 v78, v27, v50, v78
	v_mul_f16_sdwa v50, v27, v50 dst_sel:DWORD dst_unused:UNUSED_PAD src0_sel:WORD_1 src1_sel:DWORD
	ds_read2_b32 v[75:76], v43 offset0:192 offset1:248
	v_fma_f16 v50, v27, v80, -v50
	v_mul_f16_sdwa v80, v28, v81 dst_sel:DWORD dst_unused:UNUSED_PAD src0_sel:WORD_1 src1_sel:DWORD
	v_lshrrev_b32_e32 v83, 16, v51
	v_fma_f16 v80, v28, v49, v80
	v_mul_f16_sdwa v49, v28, v49 dst_sel:DWORD dst_unused:UNUSED_PAD src0_sel:WORD_1 src1_sel:DWORD
	v_fma_f16 v49, v28, v81, -v49
	v_mul_f16_sdwa v81, v27, v83 dst_sel:DWORD dst_unused:UNUSED_PAD src0_sel:WORD_1 src1_sel:DWORD
	s_waitcnt lgkmcnt(1)
	v_lshrrev_b32_e32 v84, 16, v73
	v_fma_f16 v81, v27, v51, v81
	v_mul_f16_sdwa v51, v27, v51 dst_sel:DWORD dst_unused:UNUSED_PAD src0_sel:WORD_1 src1_sel:DWORD
	v_fma_f16 v51, v27, v83, -v51
	v_mul_f16_sdwa v83, v28, v84 dst_sel:DWORD dst_unused:UNUSED_PAD src0_sel:WORD_1 src1_sel:DWORD
	s_waitcnt lgkmcnt(0)
	v_lshrrev_b32_e32 v87, 16, v75
	v_fma_f16 v83, v28, v73, v83
	v_mul_f16_sdwa v73, v28, v73 dst_sel:DWORD dst_unused:UNUSED_PAD src0_sel:WORD_1 src1_sel:DWORD
	ds_read_b32 v86, v55 offset:3136
	v_fma_f16 v73, v28, v84, -v73
	v_mul_f16_sdwa v84, v27, v87 dst_sel:DWORD dst_unused:UNUSED_PAD src0_sel:WORD_1 src1_sel:DWORD
	v_lshrrev_b32_e32 v88, 16, v74
	v_fma_f16 v84, v27, v75, v84
	v_mul_f16_sdwa v75, v27, v75 dst_sel:DWORD dst_unused:UNUSED_PAD src0_sel:WORD_1 src1_sel:DWORD
	v_fma_f16 v75, v27, v87, -v75
	v_mul_f16_sdwa v87, v28, v88 dst_sel:DWORD dst_unused:UNUSED_PAD src0_sel:WORD_1 src1_sel:DWORD
	ds_read2_b32 v[44:45], v55 offset1:56
	v_lshrrev_b32_e32 v90, 16, v76
	v_fma_f16 v87, v28, v74, v87
	v_mul_f16_sdwa v74, v28, v74 dst_sel:DWORD dst_unused:UNUSED_PAD src0_sel:WORD_1 src1_sel:DWORD
	v_fma_f16 v74, v28, v88, -v74
	v_mul_f16_sdwa v88, v27, v90 dst_sel:DWORD dst_unused:UNUSED_PAD src0_sel:WORD_1 src1_sel:DWORD
	s_waitcnt lgkmcnt(1)
	v_lshrrev_b32_e32 v91, 16, v86
	v_fma_f16 v88, v27, v76, v88
	v_mul_f16_sdwa v76, v27, v76 dst_sel:DWORD dst_unused:UNUSED_PAD src0_sel:WORD_1 src1_sel:DWORD
	v_fma_f16 v27, v27, v90, -v76
	v_mul_f16_sdwa v76, v28, v91 dst_sel:DWORD dst_unused:UNUSED_PAD src0_sel:WORD_1 src1_sel:DWORD
	v_fma_f16 v76, v28, v86, v76
	v_mul_f16_sdwa v86, v28, v86 dst_sel:DWORD dst_unused:UNUSED_PAD src0_sel:WORD_1 src1_sel:DWORD
	v_add_f16_e32 v90, v92, v77
	s_waitcnt lgkmcnt(0)
	v_lshrrev_b32_e32 v39, 16, v44
	v_fma_f16 v28, v28, v91, -v86
	v_add_f16_e32 v86, v44, v92
	v_fma_f16 v44, v90, -0.5, v44
	v_sub_f16_e32 v90, v47, v48
	s_mov_b32 s2, 0xbaee
	s_movk_i32 s3, 0x3aee
	v_fma_f16 v91, v90, s2, v44
	v_fma_f16 v44, v90, s3, v44
	v_add_f16_e32 v90, v39, v47
	v_add_f16_e32 v47, v47, v48
	ds_read2_b32 v[71:72], v55 offset0:112 offset1:168
	v_add_f16_e32 v86, v86, v77
	v_fma_f16 v39, v47, -0.5, v39
	v_sub_f16_e32 v47, v92, v77
	v_add_f16_e32 v77, v78, v80
	v_lshrrev_b32_e32 v79, 16, v45
	v_add_f16_e32 v90, v90, v48
	v_fma_f16 v48, v47, s3, v39
	v_fma_f16 v39, v47, s2, v39
	v_add_f16_e32 v47, v45, v78
	v_fma_f16 v45, v77, -0.5, v45
	v_sub_f16_e32 v77, v50, v49
	v_fma_f16 v92, v77, s2, v45
	v_fma_f16 v45, v77, s3, v45
	v_add_f16_e32 v77, v79, v50
	v_add_f16_e32 v77, v77, v49
	;; [unrolled: 1-line block ×3, first 2 shown]
	v_fma_f16 v49, v49, -0.5, v79
	v_sub_f16_e32 v50, v78, v80
	v_add_f16_e32 v79, v81, v83
	s_waitcnt lgkmcnt(0)
	v_lshrrev_b32_e32 v82, 16, v71
	v_fma_f16 v78, v50, s3, v49
	v_fma_f16 v49, v50, s2, v49
	v_add_f16_e32 v50, v71, v81
	v_fma_f16 v71, v79, -0.5, v71
	v_sub_f16_e32 v79, v51, v73
	v_add_f16_e32 v47, v47, v80
	v_fma_f16 v80, v79, s2, v71
	v_fma_f16 v71, v79, s3, v71
	v_add_f16_e32 v79, v82, v51
	v_add_f16_e32 v51, v51, v73
	v_add_f16_e32 v79, v79, v73
	v_fma_f16 v51, v51, -0.5, v82
	v_sub_f16_e32 v73, v81, v83
	v_add_f16_e32 v82, v84, v87
	v_lshrrev_b32_e32 v85, 16, v72
	v_fma_f16 v81, v73, s3, v51
	v_fma_f16 v51, v73, s2, v51
	v_add_f16_e32 v73, v72, v84
	v_fma_f16 v72, v82, -0.5, v72
	v_sub_f16_e32 v82, v75, v74
	v_add_f16_e32 v50, v50, v83
	v_fma_f16 v83, v82, s2, v72
	v_fma_f16 v72, v82, s3, v72
	v_add_f16_e32 v82, v85, v75
	v_add_f16_e32 v82, v82, v74
	v_add_f16_e32 v74, v75, v74
	v_fma_f16 v74, v74, -0.5, v85
	v_sub_f16_e32 v75, v84, v87
	v_add_f16_e32 v85, v88, v76
	;; [unrolled: 15-line block ×3, first 2 shown]
	v_fma_f16 v76, v28, s3, v27
	v_fma_f16 v27, v28, s2, v27
	v_pack_b32_f16 v28, v86, v90
	v_pack_b32_f16 v48, v91, v48
	s_waitcnt lgkmcnt(0)
	; wave barrier
	ds_write2_b32 v98, v28, v48 offset1:8
	v_pack_b32_f16 v28, v44, v39
	ds_write_b32 v98, v28 offset:64
	v_pack_b32_f16 v28, v47, v77
	v_pack_b32_f16 v39, v92, v78
	ds_write2_b32 v99, v28, v39 offset1:8
	v_pack_b32_f16 v28, v45, v49
	ds_write_b32 v99, v28 offset:64
	v_pack_b32_f16 v28, v50, v79
	v_pack_b32_f16 v39, v80, v81
	;; [unrolled: 5-line block ×4, first 2 shown]
	v_pack_b32_f16 v27, v46, v27
	ds_write2_b32 v102, v28, v39 offset1:8
	ds_write_b32 v102, v27 offset:64
	s_waitcnt lgkmcnt(0)
	; wave barrier
	s_waitcnt lgkmcnt(0)
	ds_read2_b32 v[27:28], v55 offset1:56
	ds_read2_b32 v[44:45], v55 offset0:112 offset1:168
	ds_read2_b32 v[46:47], v43 offset0:80 offset1:136
	;; [unrolled: 1-line block ×5, first 2 shown]
	s_waitcnt lgkmcnt(4)
	v_lshrrev_b32_e32 v75, 16, v45
	v_mul_f16_sdwa v90, v4, v75 dst_sel:DWORD dst_unused:UNUSED_PAD src0_sel:WORD_1 src1_sel:DWORD
	s_waitcnt lgkmcnt(3)
	v_lshrrev_b32_e32 v76, 16, v46
	v_fma_f16 v90, v4, v45, v90
	v_mul_f16_sdwa v45, v4, v45 dst_sel:DWORD dst_unused:UNUSED_PAD src0_sel:WORD_1 src1_sel:DWORD
	v_fma_f16 v4, v4, v75, -v45
	v_mul_f16_sdwa v45, v5, v76 dst_sel:DWORD dst_unused:UNUSED_PAD src0_sel:WORD_1 src1_sel:DWORD
	s_waitcnt lgkmcnt(2)
	v_lshrrev_b32_e32 v77, 16, v49
	v_fma_f16 v45, v5, v46, v45
	v_mul_f16_sdwa v46, v5, v46 dst_sel:DWORD dst_unused:UNUSED_PAD src0_sel:WORD_1 src1_sel:DWORD
	v_fma_f16 v5, v5, v76, -v46
	v_mul_f16_sdwa v46, v6, v77 dst_sel:DWORD dst_unused:UNUSED_PAD src0_sel:WORD_1 src1_sel:DWORD
	s_waitcnt lgkmcnt(1)
	v_lshrrev_b32_e32 v78, 16, v50
	v_fma_f16 v46, v6, v49, v46
	v_mul_f16_sdwa v49, v6, v49 dst_sel:DWORD dst_unused:UNUSED_PAD src0_sel:WORD_1 src1_sel:DWORD
	ds_read2_b32 v[73:74], v42 offset0:48 offset1:104
	v_fma_f16 v6, v6, v77, -v49
	v_mul_f16_sdwa v49, v7, v78 dst_sel:DWORD dst_unused:UNUSED_PAD src0_sel:WORD_1 src1_sel:DWORD
	s_waitcnt lgkmcnt(1)
	v_lshrrev_b32_e32 v80, 16, v71
	v_fma_f16 v49, v7, v50, v49
	v_mul_f16_sdwa v50, v7, v50 dst_sel:DWORD dst_unused:UNUSED_PAD src0_sel:WORD_1 src1_sel:DWORD
	v_fma_f16 v7, v7, v78, -v50
	v_mul_f16_sdwa v50, v8, v80 dst_sel:DWORD dst_unused:UNUSED_PAD src0_sel:WORD_1 src1_sel:DWORD
	v_lshrrev_b32_e32 v81, 16, v47
	v_fma_f16 v50, v8, v71, v50
	v_mul_f16_sdwa v71, v8, v71 dst_sel:DWORD dst_unused:UNUSED_PAD src0_sel:WORD_1 src1_sel:DWORD
	v_fma_f16 v8, v8, v80, -v71
	v_mul_f16_sdwa v71, v9, v81 dst_sel:DWORD dst_unused:UNUSED_PAD src0_sel:WORD_1 src1_sel:DWORD
	s_waitcnt lgkmcnt(0)
	v_lshrrev_b32_e32 v82, 16, v73
	v_fma_f16 v71, v9, v47, v71
	v_mul_f16_sdwa v47, v9, v47 dst_sel:DWORD dst_unused:UNUSED_PAD src0_sel:WORD_1 src1_sel:DWORD
	v_fma_f16 v9, v9, v81, -v47
	v_mul_f16_sdwa v47, v10, v82 dst_sel:DWORD dst_unused:UNUSED_PAD src0_sel:WORD_1 src1_sel:DWORD
	v_lshrrev_b32_e32 v83, 16, v51
	v_fma_f16 v47, v10, v73, v47
	v_mul_f16_sdwa v73, v10, v73 dst_sel:DWORD dst_unused:UNUSED_PAD src0_sel:WORD_1 src1_sel:DWORD
	v_fma_f16 v10, v10, v82, -v73
	v_mul_f16_sdwa v73, v11, v83 dst_sel:DWORD dst_unused:UNUSED_PAD src0_sel:WORD_1 src1_sel:DWORD
	v_lshrrev_b32_e32 v86, 16, v72
	v_fma_f16 v73, v11, v51, v73
	v_mul_f16_sdwa v51, v11, v51 dst_sel:DWORD dst_unused:UNUSED_PAD src0_sel:WORD_1 src1_sel:DWORD
	ds_read_b32 v84, v55 offset:3136
	v_fma_f16 v11, v11, v83, -v51
	v_mul_f16_sdwa v51, v12, v86 dst_sel:DWORD dst_unused:UNUSED_PAD src0_sel:WORD_1 src1_sel:DWORD
	v_lshrrev_b32_e32 v87, 16, v48
	v_fma_f16 v51, v12, v72, v51
	v_mul_f16_sdwa v72, v12, v72 dst_sel:DWORD dst_unused:UNUSED_PAD src0_sel:WORD_1 src1_sel:DWORD
	v_fma_f16 v12, v12, v86, -v72
	v_mul_f16_sdwa v72, v13, v87 dst_sel:DWORD dst_unused:UNUSED_PAD src0_sel:WORD_1 src1_sel:DWORD
	v_lshrrev_b32_e32 v88, 16, v74
	v_fma_f16 v72, v13, v48, v72
	v_mul_f16_sdwa v48, v13, v48 dst_sel:DWORD dst_unused:UNUSED_PAD src0_sel:WORD_1 src1_sel:DWORD
	v_add_f16_e32 v76, v45, v46
	v_fma_f16 v13, v13, v87, -v48
	v_mul_f16_sdwa v48, v14, v88 dst_sel:DWORD dst_unused:UNUSED_PAD src0_sel:WORD_1 src1_sel:DWORD
	v_fma_f16 v76, v76, -0.5, v27
	v_sub_f16_e32 v77, v4, v7
	s_mov_b32 s2, 0xbb9c
	s_movk_i32 s5, 0x3b9c
	s_waitcnt lgkmcnt(0)
	v_lshrrev_b32_e32 v89, 16, v84
	v_fma_f16 v48, v14, v74, v48
	v_mul_f16_sdwa v74, v14, v74 dst_sel:DWORD dst_unused:UNUSED_PAD src0_sel:WORD_1 src1_sel:DWORD
	v_fma_f16 v78, v77, s2, v76
	v_sub_f16_e32 v80, v5, v6
	s_mov_b32 s3, 0xb8b4
	v_sub_f16_e32 v81, v90, v45
	v_sub_f16_e32 v82, v49, v46
	v_fma_f16 v76, v77, s5, v76
	s_movk_i32 s12, 0x38b4
	v_fma_f16 v14, v14, v88, -v74
	v_mul_f16_sdwa v74, v15, v89 dst_sel:DWORD dst_unused:UNUSED_PAD src0_sel:WORD_1 src1_sel:DWORD
	v_mul_f16_sdwa v75, v15, v84 dst_sel:DWORD dst_unused:UNUSED_PAD src0_sel:WORD_1 src1_sel:DWORD
	v_fma_f16 v78, v80, s3, v78
	v_add_f16_e32 v81, v81, v82
	s_movk_i32 s4, 0x34f2
	v_fma_f16 v76, v80, s12, v76
	v_fma_f16 v74, v15, v84, v74
	v_fma_f16 v15, v15, v89, -v75
	v_add_f16_e32 v75, v27, v90
	v_fma_f16 v78, v81, s4, v78
	v_fma_f16 v76, v81, s4, v76
	v_add_f16_e32 v81, v90, v49
	v_lshrrev_b32_e32 v39, 16, v27
	v_add_f16_e32 v75, v75, v45
	v_fma_f16 v27, v81, -0.5, v27
	v_add_f16_e32 v75, v75, v46
	v_fma_f16 v81, v80, s5, v27
	v_sub_f16_e32 v82, v45, v90
	v_sub_f16_e32 v83, v46, v49
	v_fma_f16 v27, v80, s2, v27
	v_add_f16_e32 v80, v5, v6
	v_add_f16_e32 v75, v75, v49
	v_fma_f16 v81, v77, s3, v81
	v_add_f16_e32 v82, v82, v83
	v_fma_f16 v27, v77, s12, v27
	v_fma_f16 v80, v80, -0.5, v39
	v_sub_f16_e32 v49, v90, v49
	v_fma_f16 v81, v82, s4, v81
	v_fma_f16 v27, v82, s4, v27
	;; [unrolled: 1-line block ×3, first 2 shown]
	v_sub_f16_e32 v45, v45, v46
	v_fma_f16 v46, v45, s12, v82
	v_sub_f16_e32 v82, v4, v5
	v_sub_f16_e32 v83, v7, v6
	v_fma_f16 v80, v49, s2, v80
	v_add_f16_e32 v77, v39, v4
	v_add_f16_e32 v82, v82, v83
	v_fma_f16 v80, v45, s3, v80
	v_add_f16_e32 v77, v77, v5
	v_fma_f16 v46, v82, s4, v46
	v_fma_f16 v80, v82, s4, v80
	v_add_f16_e32 v82, v4, v7
	v_add_f16_e32 v77, v77, v6
	v_fma_f16 v39, v82, -0.5, v39
	v_add_f16_e32 v77, v77, v7
	v_fma_f16 v82, v45, s2, v39
	v_sub_f16_e32 v4, v5, v4
	v_sub_f16_e32 v5, v6, v7
	v_add_f16_e32 v7, v71, v47
	v_fma_f16 v82, v49, s12, v82
	v_add_f16_e32 v4, v4, v5
	v_fma_f16 v6, v45, s5, v39
	v_fma_f16 v7, v7, -0.5, v28
	v_sub_f16_e32 v39, v8, v11
	v_fma_f16 v5, v4, s4, v82
	v_fma_f16 v6, v49, s3, v6
	;; [unrolled: 1-line block ×3, first 2 shown]
	v_sub_f16_e32 v49, v9, v10
	v_sub_f16_e32 v82, v50, v71
	;; [unrolled: 1-line block ×3, first 2 shown]
	v_fma_f16 v7, v39, s5, v7
	v_fma_f16 v45, v49, s3, v45
	v_add_f16_e32 v82, v82, v83
	v_fma_f16 v7, v49, s12, v7
	v_fma_f16 v45, v82, s4, v45
	v_fma_f16 v7, v82, s4, v7
	v_add_f16_e32 v82, v50, v73
	v_lshrrev_b32_e32 v79, 16, v28
	v_fma_f16 v4, v4, s4, v6
	v_add_f16_e32 v6, v28, v50
	v_fma_f16 v28, v82, -0.5, v28
	v_fma_f16 v82, v49, s5, v28
	v_fma_f16 v28, v49, s2, v28
	;; [unrolled: 1-line block ×4, first 2 shown]
	v_add_f16_e32 v39, v79, v8
	v_add_f16_e32 v39, v39, v9
	;; [unrolled: 1-line block ×7, first 2 shown]
	v_sub_f16_e32 v83, v71, v50
	v_sub_f16_e32 v84, v47, v73
	v_fma_f16 v39, v39, -0.5, v79
	v_sub_f16_e32 v50, v50, v73
	v_add_f16_e32 v6, v6, v73
	v_add_f16_e32 v83, v83, v84
	v_fma_f16 v73, v50, s5, v39
	v_sub_f16_e32 v47, v71, v47
	v_fma_f16 v82, v83, s4, v82
	v_fma_f16 v28, v83, s4, v28
	;; [unrolled: 1-line block ×3, first 2 shown]
	v_sub_f16_e32 v73, v8, v9
	v_sub_f16_e32 v83, v11, v10
	v_fma_f16 v39, v50, s2, v39
	v_add_f16_e32 v73, v73, v83
	v_fma_f16 v39, v47, s3, v39
	v_fma_f16 v71, v73, s4, v71
	;; [unrolled: 1-line block ×3, first 2 shown]
	v_add_f16_e32 v39, v8, v11
	v_fma_f16 v39, v39, -0.5, v79
	v_fma_f16 v79, v47, s2, v39
	v_sub_f16_e32 v8, v9, v8
	v_sub_f16_e32 v9, v10, v11
	v_add_f16_e32 v11, v72, v48
	v_fma_f16 v79, v50, s12, v79
	v_add_f16_e32 v8, v8, v9
	v_fma_f16 v10, v47, s5, v39
	v_fma_f16 v11, v11, -0.5, v44
	v_sub_f16_e32 v47, v12, v15
	v_fma_f16 v9, v8, s4, v79
	v_fma_f16 v10, v50, s3, v10
	;; [unrolled: 1-line block ×3, first 2 shown]
	v_sub_f16_e32 v50, v13, v14
	v_sub_f16_e32 v79, v51, v72
	v_sub_f16_e32 v83, v74, v48
	v_fma_f16 v11, v47, s5, v11
	v_fma_f16 v39, v50, s3, v39
	v_add_f16_e32 v79, v79, v83
	v_fma_f16 v11, v50, s12, v11
	v_fma_f16 v83, v79, s4, v39
	v_fma_f16 v39, v79, s4, v11
	v_add_f16_e32 v11, v51, v74
	v_fma_f16 v11, v11, -0.5, v44
	v_lshrrev_b32_e32 v85, 16, v44
	v_fma_f16 v8, v8, s4, v10
	v_add_f16_e32 v10, v44, v51
	v_fma_f16 v44, v50, s5, v11
	v_sub_f16_e32 v79, v72, v51
	v_sub_f16_e32 v84, v48, v74
	v_fma_f16 v44, v47, s3, v44
	v_add_f16_e32 v79, v79, v84
	v_fma_f16 v84, v79, s4, v44
	v_add_f16_e32 v44, v85, v12
	v_add_f16_e32 v44, v44, v13
	v_fma_f16 v11, v50, s2, v11
	v_add_f16_e32 v44, v44, v14
	;; [unrolled: 3-line block ×3, first 2 shown]
	v_add_f16_e32 v44, v13, v14
	v_add_f16_e32 v10, v10, v48
	v_fma_f16 v44, v44, -0.5, v85
	v_sub_f16_e32 v50, v51, v74
	v_add_f16_e32 v10, v10, v74
	v_fma_f16 v51, v50, s5, v44
	v_sub_f16_e32 v48, v72, v48
	v_sub_f16_e32 v72, v12, v13
	;; [unrolled: 1-line block ×3, first 2 shown]
	v_fma_f16 v44, v50, s2, v44
	v_fma_f16 v51, v48, s12, v51
	v_add_f16_e32 v72, v72, v74
	v_fma_f16 v44, v48, s3, v44
	v_fma_f16 v51, v72, s4, v51
	;; [unrolled: 1-line block ×3, first 2 shown]
	v_add_f16_e32 v72, v12, v15
	v_fma_f16 v72, v72, -0.5, v85
	v_fma_f16 v74, v48, s2, v72
	v_sub_f16_e32 v12, v13, v12
	v_sub_f16_e32 v13, v14, v15
	v_fma_f16 v14, v48, s5, v72
	v_pack_b32_f16 v5, v81, v5
	v_pack_b32_f16 v4, v27, v4
	v_fma_f16 v74, v50, s12, v74
	v_add_f16_e32 v12, v12, v13
	v_fma_f16 v14, v50, s3, v14
	s_waitcnt lgkmcnt(0)
	; wave barrier
	ds_write2_b32 v103, v5, v4 offset0:48 offset1:72
	v_pack_b32_f16 v4, v76, v80
	v_fma_f16 v13, v12, s4, v74
	v_fma_f16 v12, v12, s4, v14
	v_pack_b32_f16 v14, v75, v77
	v_pack_b32_f16 v15, v78, v46
	ds_write_b32 v103, v4 offset:384
	v_pack_b32_f16 v4, v6, v49
	v_pack_b32_f16 v5, v45, v71
	ds_write2_b32 v103, v14, v15 offset1:24
	ds_write2_b32 v104, v4, v5 offset1:24
	v_pack_b32_f16 v4, v82, v9
	v_pack_b32_f16 v5, v28, v8
	ds_write2_b32 v104, v4, v5 offset0:48 offset1:72
	v_pack_b32_f16 v4, v7, v73
	v_fma_f16 v11, v79, s4, v11
	ds_write_b32 v104, v4 offset:384
	v_pack_b32_f16 v4, v10, v47
	v_pack_b32_f16 v5, v83, v51
	ds_write2_b32 v105, v4, v5 offset1:24
	v_pack_b32_f16 v4, v84, v13
	v_pack_b32_f16 v5, v11, v12
	ds_write2_b32 v105, v4, v5 offset0:48 offset1:72
	v_pack_b32_f16 v4, v39, v44
	ds_write_b32 v105, v4 offset:384
	s_waitcnt lgkmcnt(0)
	; wave barrier
	s_waitcnt lgkmcnt(0)
	ds_read2_b32 v[4:5], v55 offset1:56
	ds_read2_b32 v[27:28], v55 offset0:120 offset1:176
	ds_read2_b32 v[14:15], v52 offset0:112 offset1:168
	ds_read2_b32 v[10:11], v43 offset0:104 offset1:160
	v_add_u32_e32 v6, 0x600, v55
	v_add_u32_e32 v8, 0xa00, v55
	ds_read2_b32 v[12:13], v6 offset0:96 offset1:152
	ds_read2_b32 v[6:7], v42 offset0:88 offset1:144
	;; [unrolled: 1-line block ×3, first 2 shown]
	s_and_saveexec_b64 s[2:3], vcc
	s_cbranch_execz .LBB0_35
; %bb.34:
	ds_read2_b32 v[39:40], v55 offset0:112 offset1:232
	ds_read2_b32 v[35:36], v43 offset0:96 offset1:216
	;; [unrolled: 1-line block ×3, first 2 shown]
	ds_read_b32 v108, v55 offset:3328
	s_waitcnt lgkmcnt(3)
	v_lshrrev_b32_e32 v44, 16, v39
	v_lshrrev_b32_e32 v41, 16, v40
	s_waitcnt lgkmcnt(2)
	v_lshrrev_b32_e32 v53, 16, v35
	v_lshrrev_b32_e32 v106, 16, v36
	;; [unrolled: 3-line block ×3, first 2 shown]
	s_waitcnt lgkmcnt(0)
	v_lshrrev_b32_e32 v109, 16, v108
.LBB0_35:
	s_or_b64 exec, exec, s[2:3]
	s_waitcnt lgkmcnt(5)
	v_lshrrev_b32_e32 v42, 16, v27
	v_mul_f16_sdwa v73, v16, v42 dst_sel:DWORD dst_unused:UNUSED_PAD src0_sel:WORD_1 src1_sel:DWORD
	s_waitcnt lgkmcnt(4)
	v_lshrrev_b32_e32 v43, 16, v14
	v_fma_f16 v73, v16, v27, v73
	v_mul_f16_sdwa v27, v16, v27 dst_sel:DWORD dst_unused:UNUSED_PAD src0_sel:WORD_1 src1_sel:DWORD
	v_fma_f16 v16, v16, v42, -v27
	v_mul_f16_sdwa v27, v17, v43 dst_sel:DWORD dst_unused:UNUSED_PAD src0_sel:WORD_1 src1_sel:DWORD
	s_waitcnt lgkmcnt(3)
	v_lshrrev_b32_e32 v45, 16, v10
	v_fma_f16 v27, v17, v14, v27
	v_mul_f16_sdwa v14, v17, v14 dst_sel:DWORD dst_unused:UNUSED_PAD src0_sel:WORD_1 src1_sel:DWORD
	v_fma_f16 v14, v17, v43, -v14
	;; [unrolled: 6-line block ×5, first 2 shown]
	v_mul_f16_sdwa v31, v32, v48 dst_sel:DWORD dst_unused:UNUSED_PAD src0_sel:WORD_1 src1_sel:DWORD
	v_lshrrev_b32_e32 v49, 16, v28
	v_fma_f16 v31, v32, v8, v31
	v_mul_f16_sdwa v8, v32, v8 dst_sel:DWORD dst_unused:UNUSED_PAD src0_sel:WORD_1 src1_sel:DWORD
	v_fma_f16 v8, v32, v48, -v8
	v_mul_f16_sdwa v32, v20, v49 dst_sel:DWORD dst_unused:UNUSED_PAD src0_sel:WORD_1 src1_sel:DWORD
	v_lshrrev_b32_e32 v50, 16, v15
	v_fma_f16 v32, v20, v28, v32
	v_mul_f16_sdwa v28, v20, v28 dst_sel:DWORD dst_unused:UNUSED_PAD src0_sel:WORD_1 src1_sel:DWORD
	v_fma_f16 v20, v20, v49, -v28
	;; [unrolled: 5-line block ×6, first 2 shown]
	v_mul_f16_sdwa v33, v34, v72 dst_sel:DWORD dst_unused:UNUSED_PAD src0_sel:WORD_1 src1_sel:DWORD
	v_fma_f16 v33, v34, v9, v33
	v_mul_f16_sdwa v9, v34, v9 dst_sel:DWORD dst_unused:UNUSED_PAD src0_sel:WORD_1 src1_sel:DWORD
	v_fma_f16 v9, v34, v72, -v9
	v_add_f16_e32 v34, v73, v31
	v_add_f16_e32 v42, v16, v8
	v_sub_f16_e32 v8, v16, v8
	v_add_f16_e32 v16, v27, v19
	v_add_f16_e32 v43, v14, v6
	v_sub_f16_e32 v31, v73, v31
	v_sub_f16_e32 v19, v27, v19
	;; [unrolled: 1-line block ×3, first 2 shown]
	v_add_f16_e32 v14, v17, v18
	v_add_f16_e32 v27, v10, v12
	v_sub_f16_e32 v17, v18, v17
	v_sub_f16_e32 v10, v12, v10
	v_add_f16_e32 v12, v16, v34
	v_add_f16_e32 v18, v43, v42
	v_sub_f16_e32 v45, v16, v34
	v_sub_f16_e32 v46, v43, v42
	;; [unrolled: 1-line block ×6, first 2 shown]
	v_add_f16_e32 v47, v17, v19
	v_add_f16_e32 v48, v10, v6
	v_sub_f16_e32 v49, v17, v19
	v_sub_f16_e32 v50, v10, v6
	;; [unrolled: 1-line block ×4, first 2 shown]
	v_add_f16_e32 v12, v14, v12
	v_add_f16_e32 v14, v27, v18
	v_sub_f16_e32 v17, v31, v17
	v_sub_f16_e32 v10, v8, v10
	v_add_f16_e32 v18, v47, v31
	v_add_f16_e32 v8, v48, v8
	;; [unrolled: 1-line block ×3, first 2 shown]
	v_add_f16_sdwa v4, v4, v14 dst_sel:DWORD dst_unused:UNUSED_PAD src0_sel:WORD_1 src1_sel:DWORD
	v_mul_f16_e32 v31, 0x3a52, v34
	v_mul_f16_e32 v34, 0x3a52, v42
	s_movk_i32 s15, 0x2b26
	v_mul_f16_e32 v42, 0x2b26, v16
	v_mul_f16_e32 v47, 0x2b26, v43
	;; [unrolled: 1-line block ×4, first 2 shown]
	s_mov_b32 s4, 0xbb00
	v_mul_f16_e32 v50, 0xbb00, v19
	v_mul_f16_e32 v51, 0xbb00, v6
	s_mov_b32 s16, 0xbcab
	s_movk_i32 s5, 0x39e0
	s_mov_b32 s12, 0xb9e0
	s_mov_b32 s17, 0xb574
	s_movk_i32 s13, 0x3574
	v_fma_f16 v12, v12, s16, v27
	v_fma_f16 v14, v14, s16, v4
	;; [unrolled: 1-line block ×4, first 2 shown]
	v_fma_f16 v42, v45, s5, -v42
	v_fma_f16 v47, v46, s5, -v47
	;; [unrolled: 1-line block ×4, first 2 shown]
	v_fma_f16 v45, v17, s17, v48
	v_fma_f16 v46, v10, s17, v49
	v_fma_f16 v6, v6, s4, -v49
	v_fma_f16 v17, v17, s13, -v50
	;; [unrolled: 1-line block ×3, first 2 shown]
	s_mov_b32 s14, 0xb70e
	v_fma_f16 v19, v19, s4, -v48
	v_add_f16_e32 v16, v16, v12
	v_add_f16_e32 v43, v43, v14
	v_add_f16_e32 v42, v42, v12
	v_add_f16_e32 v47, v47, v14
	v_add_f16_e32 v12, v31, v12
	v_add_f16_e32 v14, v34, v14
	v_fma_f16 v31, v18, s14, v45
	v_fma_f16 v34, v8, s14, v46
	;; [unrolled: 1-line block ×6, first 2 shown]
	v_add_f16_e32 v10, v34, v16
	v_sub_f16_e32 v18, v43, v31
	v_add_f16_e32 v45, v8, v12
	v_sub_f16_e32 v46, v14, v17
	v_sub_f16_e32 v8, v12, v8
	v_add_f16_e32 v12, v17, v14
	v_sub_f16_e32 v14, v16, v34
	v_add_f16_e32 v16, v31, v43
	v_add_f16_e32 v17, v32, v33
	;; [unrolled: 1-line block ×3, first 2 shown]
	v_sub_f16_e32 v32, v32, v33
	v_sub_f16_e32 v9, v20, v9
	v_add_f16_e32 v20, v28, v23
	v_add_f16_e32 v33, v15, v7
	v_sub_f16_e32 v23, v28, v23
	v_sub_f16_e32 v7, v15, v7
	v_add_f16_e32 v15, v21, v22
	v_add_f16_e32 v28, v11, v13
	;; [unrolled: 4-line block ×3, first 2 shown]
	v_sub_f16_e32 v48, v42, v6
	v_add_f16_e32 v49, v19, v47
	v_add_f16_e32 v6, v6, v42
	v_sub_f16_e32 v19, v47, v19
	v_sub_f16_e32 v34, v20, v17
	;; [unrolled: 1-line block ×7, first 2 shown]
	v_add_f16_e32 v43, v21, v23
	v_add_f16_e32 v47, v11, v7
	v_sub_f16_e32 v50, v21, v23
	v_sub_f16_e32 v51, v11, v7
	v_add_f16_e32 v13, v15, v13
	v_add_f16_e32 v15, v28, v22
	v_sub_f16_e32 v21, v32, v21
	v_sub_f16_e32 v11, v9, v11
	;; [unrolled: 1-line block ×4, first 2 shown]
	v_add_f16_e32 v22, v43, v32
	v_add_f16_e32 v9, v47, v9
	;; [unrolled: 1-line block ×3, first 2 shown]
	v_add_f16_sdwa v5, v5, v15 dst_sel:DWORD dst_unused:UNUSED_PAD src0_sel:WORD_1 src1_sel:DWORD
	v_mul_f16_e32 v17, 0x3a52, v17
	v_mul_f16_e32 v31, 0x3a52, v31
	;; [unrolled: 1-line block ×8, first 2 shown]
	v_fma_f16 v13, v13, s16, v28
	v_fma_f16 v15, v15, s16, v5
	;; [unrolled: 1-line block ×4, first 2 shown]
	v_fma_f16 v32, v34, s5, -v32
	v_fma_f16 v43, v42, s5, -v43
	;; [unrolled: 1-line block ×4, first 2 shown]
	v_fma_f16 v34, v21, s17, v47
	v_fma_f16 v42, v11, s17, v50
	v_pack_b32_f16 v10, v10, v18
	v_pack_b32_f16 v6, v6, v19
	v_fma_f16 v23, v23, s4, -v47
	v_fma_f16 v7, v7, s4, -v50
	;; [unrolled: 1-line block ×4, first 2 shown]
	v_add_f16_e32 v20, v20, v13
	v_add_f16_e32 v33, v33, v15
	;; [unrolled: 1-line block ×6, first 2 shown]
	v_fma_f16 v17, v22, s14, v34
	v_fma_f16 v31, v9, s14, v42
	ds_write_b32 v55, v10 offset:480
	v_pack_b32_f16 v10, v45, v46
	ds_write_b32 v55, v6 offset:1920
	v_pack_b32_f16 v6, v8, v12
	v_fma_f16 v23, v22, s14, v23
	v_fma_f16 v7, v9, s14, v7
	;; [unrolled: 1-line block ×4, first 2 shown]
	v_add_f16_e32 v11, v31, v20
	v_sub_f16_e32 v22, v33, v17
	v_pack_b32_f16 v4, v27, v4
	ds_write_b32 v55, v10 offset:960
	v_pack_b32_f16 v10, v48, v49
	ds_write_b32 v55, v6 offset:2400
	v_pack_b32_f16 v6, v14, v16
	v_pack_b32_f16 v5, v28, v5
	v_add_f16_e32 v34, v9, v13
	v_sub_f16_e32 v42, v15, v21
	ds_write_b32 v55, v10 offset:1440
	ds_write_b32 v55, v6 offset:2880
	ds_write2_b32 v55, v4, v5 offset1:56
	v_pack_b32_f16 v4, v11, v22
	v_sub_f16_e32 v47, v32, v7
	v_add_f16_e32 v50, v23, v43
	ds_write_b32 v55, v4 offset:704
	v_pack_b32_f16 v4, v34, v42
	v_add_f16_e32 v7, v7, v32
	v_sub_f16_e32 v23, v43, v23
	ds_write_b32 v55, v4 offset:1184
	v_pack_b32_f16 v4, v47, v50
	v_sub_f16_e32 v9, v13, v9
	v_add_f16_e32 v13, v21, v15
	ds_write_b32 v55, v4 offset:1664
	v_pack_b32_f16 v4, v7, v23
	v_sub_f16_e32 v15, v20, v31
	v_add_f16_e32 v17, v17, v33
	ds_write_b32 v55, v4 offset:2144
	v_pack_b32_f16 v4, v9, v13
	ds_write_b32 v55, v4 offset:2624
	v_pack_b32_f16 v4, v15, v17
	ds_write_b32 v55, v4 offset:3104
	s_and_saveexec_b64 s[2:3], vcc
	s_cbranch_execz .LBB0_37
; %bb.36:
	v_mul_f16_sdwa v8, v2, v106 dst_sel:DWORD dst_unused:UNUSED_PAD src0_sel:WORD_1 src1_sel:DWORD
	v_mul_f16_sdwa v18, v2, v36 dst_sel:DWORD dst_unused:UNUSED_PAD src0_sel:WORD_1 src1_sel:DWORD
	;; [unrolled: 1-line block ×5, first 2 shown]
	v_fma_f16 v8, v2, v36, v8
	v_mul_f16_sdwa v11, v1, v53 dst_sel:DWORD dst_unused:UNUSED_PAD src0_sel:WORD_1 src1_sel:DWORD
	v_mul_f16_sdwa v12, v29, v54 dst_sel:DWORD dst_unused:UNUSED_PAD src0_sel:WORD_1 src1_sel:DWORD
	;; [unrolled: 1-line block ×4, first 2 shown]
	v_fma_f16 v2, v2, v106, -v18
	v_mul_f16_sdwa v18, v3, v37 dst_sel:DWORD dst_unused:UNUSED_PAD src0_sel:WORD_1 src1_sel:DWORD
	v_mul_f16_sdwa v20, v29, v38 dst_sel:DWORD dst_unused:UNUSED_PAD src0_sel:WORD_1 src1_sel:DWORD
	;; [unrolled: 1-line block ×3, first 2 shown]
	v_fma_f16 v4, v0, v40, v4
	v_fma_f16 v5, v30, v108, v5
	;; [unrolled: 1-line block ×5, first 2 shown]
	v_fma_f16 v16, v30, v109, -v16
	v_fma_f16 v0, v0, v41, -v17
	;; [unrolled: 1-line block ×5, first 2 shown]
	v_sub_f16_e32 v6, v4, v5
	v_sub_f16_e32 v9, v7, v8
	;; [unrolled: 1-line block ×3, first 2 shown]
	v_add_f16_e32 v17, v16, v0
	v_add_f16_e32 v18, v2, v3
	;; [unrolled: 1-line block ×3, first 2 shown]
	v_sub_f16_e32 v0, v0, v16
	v_sub_f16_e32 v2, v3, v2
	;; [unrolled: 1-line block ×5, first 2 shown]
	v_add_f16_e32 v9, v9, v13
	v_add_f16_e32 v4, v5, v4
	;; [unrolled: 1-line block ×4, first 2 shown]
	v_sub_f16_e32 v3, v0, v2
	v_sub_f16_e32 v16, v2, v1
	v_add_f16_e32 v2, v2, v1
	v_add_f16_e32 v9, v9, v6
	v_add_f16_e32 v27, v21, v17
	v_add_f16_e32 v29, v8, v4
	v_add_f16_e32 v2, v2, v0
	v_sub_f16_e32 v6, v13, v6
	v_sub_f16_e32 v0, v1, v0
	v_mul_f16_e32 v14, 0x3846, v14
	v_sub_f16_e32 v19, v17, v18
	v_sub_f16_e32 v22, v18, v21
	v_add_f16_e32 v18, v18, v27
	v_sub_f16_e32 v7, v4, v5
	v_sub_f16_e32 v11, v5, v8
	v_add_f16_e32 v5, v5, v29
	v_mul_f16_e32 v16, 0x3846, v16
	v_mul_f16_e32 v13, 0xbb00, v6
	;; [unrolled: 1-line block ×3, first 2 shown]
	v_fma_f16 v15, v10, s17, v14
	v_mul_f16_e32 v19, 0x3a52, v19
	v_mul_f16_e32 v23, 0x2b26, v22
	v_add_f16_e32 v27, v44, v18
	v_mul_f16_e32 v7, 0x3a52, v7
	v_mul_f16_e32 v12, 0x2b26, v11
	v_add_f16_e32 v29, v39, v5
	v_fma_f16 v20, v3, s17, v16
	v_fma_f16 v10, v10, s13, -v13
	v_sub_f16_e32 v13, v21, v17
	v_sub_f16_e32 v4, v8, v4
	v_fma_f16 v1, v3, s13, -v1
	v_fma_f16 v0, v0, s4, -v16
	v_fma_f16 v22, v22, s15, v19
	v_fma_f16 v18, v18, s16, v27
	v_fma_f16 v11, v11, s15, v7
	v_fma_f16 v5, v5, s16, v29
	v_fma_f16 v20, v2, s14, v20
	v_fma_f16 v17, v13, s12, -v19
	v_fma_f16 v7, v4, s12, -v7
	v_fma_f16 v1, v2, s14, v1
	v_fma_f16 v8, v13, s5, -v23
	v_fma_f16 v6, v6, s4, -v14
	v_fma_f16 v0, v2, s14, v0
	v_fma_f16 v2, v4, s5, -v12
	v_fma_f16 v15, v9, s14, v15
	v_add_f16_e32 v22, v22, v18
	v_add_f16_e32 v11, v11, v5
	v_fma_f16 v10, v9, s14, v10
	v_add_f16_e32 v17, v17, v18
	v_add_f16_e32 v7, v7, v5
	;; [unrolled: 1-line block ×3, first 2 shown]
	v_fma_f16 v6, v9, s14, v6
	v_add_f16_e32 v2, v2, v5
	v_sub_f16_e32 v3, v7, v1
	v_sub_f16_e32 v9, v8, v6
	v_add_f16_e32 v4, v0, v2
	v_add_f16_e32 v5, v6, v8
	v_sub_f16_e32 v0, v2, v0
	v_sub_f16_e32 v2, v17, v10
	v_add_f16_e32 v1, v1, v7
	v_sub_f16_e32 v6, v22, v15
	v_add_f16_e32 v7, v20, v11
	v_add_f16_e32 v19, v10, v17
	v_pack_b32_f16 v8, v29, v27
	v_pack_b32_f16 v6, v7, v6
	;; [unrolled: 1-line block ×4, first 2 shown]
	v_add_u32_e32 v2, 0x400, v55
	v_add_f16_e32 v28, v15, v22
	v_sub_f16_e32 v30, v11, v20
	ds_write2_b32 v55, v8, v6 offset0:112 offset1:232
	ds_write2_b32 v2, v1, v0 offset0:96 offset1:216
	v_pack_b32_f16 v0, v4, v9
	v_pack_b32_f16 v1, v3, v19
	v_add_u32_e32 v2, 0x800, v55
	ds_write2_b32 v2, v0, v1 offset0:80 offset1:200
	v_pack_b32_f16 v0, v30, v28
	ds_write_b32 v55, v0 offset:3328
.LBB0_37:
	s_or_b64 exec, exec, s[2:3]
	s_waitcnt lgkmcnt(0)
	; wave barrier
	s_waitcnt lgkmcnt(0)
	ds_read2_b32 v[2:3], v55 offset1:56
	s_mov_b32 s12, 0x13813814
	s_mov_b32 s13, 0x3f538138
	v_mad_u64_u32 v[4:5], s[2:3], s10, v26, 0
	s_waitcnt lgkmcnt(0)
	v_lshrrev_b32_e32 v7, 16, v2
	v_mul_f16_sdwa v0, v70, v7 dst_sel:DWORD dst_unused:UNUSED_PAD src0_sel:WORD_1 src1_sel:DWORD
	v_fma_f16 v0, v70, v2, v0
	v_cvt_f32_f16_e32 v0, v0
	v_mad_u64_u32 v[5:6], s[2:3], s11, v26, v[5:6]
	s_movk_i32 s11, 0x1ff
	v_cvt_f64_f32_e32 v[0:1], v0
	s_movk_i32 s10, 0xffe
	v_mul_f16_sdwa v2, v70, v2 dst_sel:DWORD dst_unused:UNUSED_PAD src0_sel:WORD_1 src1_sel:DWORD
	v_fma_f16 v2, v70, v7, -v2
	v_mul_f64 v[0:1], v[0:1], s[12:13]
	v_cvt_f32_f16_e32 v7, v2
	v_mov_b32_e32 v2, 0x7c00
	s_movk_i32 s14, 0x40f
	s_mov_b32 s15, 0x8000
	v_lshlrev_b64 v[4:5], 2, v[4:5]
	v_and_or_b32 v0, v1, s11, v0
	v_cmp_ne_u32_e32 vcc, 0, v0
	v_lshrrev_b32_e32 v6, 8, v1
	v_bfe_u32 v8, v1, 20, 11
	v_cndmask_b32_e64 v0, 0, 1, vcc
	v_sub_u32_e32 v9, 0x3f1, v8
	v_and_or_b32 v0, v6, s10, v0
	v_med3_i32 v6, v9, 0, 13
	v_or_b32_e32 v9, 0x1000, v0
	v_lshrrev_b32_e32 v10, v6, v9
	v_lshlrev_b32_e32 v6, v6, v10
	v_cmp_ne_u32_e32 vcc, v6, v9
	v_cndmask_b32_e64 v6, 0, 1, vcc
	v_add_u32_e32 v8, 0xfffffc10, v8
	v_or_b32_e32 v6, v10, v6
	v_lshl_or_b32 v9, v8, 12, v0
	v_cmp_gt_i32_e32 vcc, 1, v8
	v_cndmask_b32_e32 v6, v9, v6, vcc
	v_and_b32_e32 v9, 7, v6
	v_cmp_lt_i32_e32 vcc, 5, v9
	v_cmp_eq_u32_e64 s[2:3], 3, v9
	v_lshrrev_b32_e32 v6, 2, v6
	s_or_b64 vcc, s[2:3], vcc
	v_addc_co_u32_e32 v9, vcc, 0, v6, vcc
	v_cvt_f64_f32_e32 v[6:7], v7
	v_cmp_gt_i32_e32 vcc, 31, v8
	v_cndmask_b32_e32 v9, v2, v9, vcc
	v_cmp_ne_u32_e32 vcc, 0, v0
	v_mul_f64 v[6:7], v[6:7], s[12:13]
	v_cndmask_b32_e64 v0, 0, 1, vcc
	v_lshl_or_b32 v0, v0, 9, v2
	v_cmp_eq_u32_e32 vcc, s14, v8
	v_cndmask_b32_e32 v0, v9, v0, vcc
	v_lshrrev_b32_e32 v1, 16, v1
	v_and_or_b32 v10, v1, s15, v0
	v_and_b32_e32 v10, 0xffff, v10
	v_and_or_b32 v0, v7, s11, v6
	v_cmp_ne_u32_e32 vcc, 0, v0
	v_cndmask_b32_e64 v0, 0, 1, vcc
	v_lshrrev_b32_e32 v1, 8, v7
	v_bfe_u32 v6, v7, 20, 11
	v_and_or_b32 v0, v1, s10, v0
	v_sub_u32_e32 v8, 0x3f1, v6
	v_or_b32_e32 v1, 0x1000, v0
	v_med3_i32 v8, v8, 0, 13
	v_lshrrev_b32_e32 v9, v8, v1
	v_lshlrev_b32_e32 v8, v8, v9
	v_cmp_ne_u32_e32 vcc, v8, v1
	v_cndmask_b32_e64 v1, 0, 1, vcc
	v_add_u32_e32 v6, 0xfffffc10, v6
	v_or_b32_e32 v1, v9, v1
	v_lshl_or_b32 v8, v6, 12, v0
	v_cmp_gt_i32_e32 vcc, 1, v6
	v_cndmask_b32_e32 v1, v8, v1, vcc
	v_and_b32_e32 v8, 7, v1
	v_cmp_lt_i32_e32 vcc, 5, v8
	v_cmp_eq_u32_e64 s[2:3], 3, v8
	v_lshrrev_b32_e32 v1, 2, v1
	s_or_b64 vcc, s[2:3], vcc
	v_addc_co_u32_e32 v1, vcc, 0, v1, vcc
	v_cmp_gt_i32_e32 vcc, 31, v6
	v_cndmask_b32_e32 v1, v2, v1, vcc
	v_cmp_ne_u32_e32 vcc, 0, v0
	v_cndmask_b32_e64 v0, 0, 1, vcc
	v_lshl_or_b32 v0, v0, 9, v2
	v_cmp_eq_u32_e32 vcc, s14, v6
	v_cndmask_b32_e32 v11, v1, v0, vcc
	v_add_u32_e32 v0, 0x400, v55
	v_mad_u64_u32 v[8:9], s[2:3], s8, v68, 0
	ds_read2_b32 v[0:1], v0 offset0:80 offset1:164
	v_lshrrev_b32_e32 v12, 16, v7
	v_mov_b32_e32 v6, v9
	v_mad_u64_u32 v[6:7], s[2:3], s9, v68, v[6:7]
	s_waitcnt lgkmcnt(0)
	v_lshrrev_b32_e32 v13, 16, v1
	v_mul_f16_sdwa v7, v69, v13 dst_sel:DWORD dst_unused:UNUSED_PAD src0_sel:WORD_1 src1_sel:DWORD
	v_fma_f16 v7, v69, v1, v7
	v_cvt_f32_f16_e32 v7, v7
	v_mov_b32_e32 v9, v6
	v_and_or_b32 v11, v12, s15, v11
	v_lshl_or_b32 v10, v11, 16, v10
	v_cvt_f64_f32_e32 v[6:7], v7
	v_mov_b32_e32 v11, s7
	v_add_co_u32_e32 v12, vcc, s6, v4
	v_mul_f64 v[6:7], v[6:7], s[12:13]
	v_addc_co_u32_e32 v11, vcc, v11, v5, vcc
	v_lshlrev_b64 v[4:5], 2, v[8:9]
	v_mul_f16_sdwa v1, v69, v1 dst_sel:DWORD dst_unused:UNUSED_PAD src0_sel:WORD_1 src1_sel:DWORD
	v_add_co_u32_e32 v4, vcc, v12, v4
	v_addc_co_u32_e32 v5, vcc, v11, v5, vcc
	v_and_or_b32 v6, v7, s11, v6
	v_cmp_ne_u32_e32 vcc, 0, v6
	v_cndmask_b32_e64 v6, 0, 1, vcc
	v_lshrrev_b32_e32 v8, 8, v7
	v_bfe_u32 v9, v7, 20, 11
	global_store_dword v[4:5], v10, off
	v_and_or_b32 v6, v8, s10, v6
	v_sub_u32_e32 v10, 0x3f1, v9
	v_or_b32_e32 v8, 0x1000, v6
	v_med3_i32 v10, v10, 0, 13
	v_lshrrev_b32_e32 v11, v10, v8
	v_lshlrev_b32_e32 v10, v10, v11
	v_cmp_ne_u32_e32 vcc, v10, v8
	v_fma_f16 v1, v69, v13, -v1
	v_cndmask_b32_e64 v8, 0, 1, vcc
	v_add_u32_e32 v10, 0xfffffc10, v9
	v_cvt_f32_f16_e32 v1, v1
	v_or_b32_e32 v8, v11, v8
	v_lshl_or_b32 v9, v10, 12, v6
	v_cmp_gt_i32_e32 vcc, 1, v10
	v_cndmask_b32_e32 v8, v9, v8, vcc
	v_and_b32_e32 v9, 7, v8
	v_cmp_lt_i32_e32 vcc, 5, v9
	v_cmp_eq_u32_e64 s[2:3], 3, v9
	v_lshrrev_b32_e32 v11, 2, v8
	v_cvt_f64_f32_e32 v[8:9], v1
	s_or_b64 vcc, s[2:3], vcc
	v_addc_co_u32_e32 v1, vcc, 0, v11, vcc
	v_mul_f64 v[8:9], v[8:9], s[12:13]
	v_cmp_gt_i32_e32 vcc, 31, v10
	v_cndmask_b32_e32 v1, v2, v1, vcc
	v_cmp_ne_u32_e32 vcc, 0, v6
	v_cndmask_b32_e64 v6, 0, 1, vcc
	v_lshl_or_b32 v6, v6, 9, v2
	v_cmp_eq_u32_e32 vcc, s14, v10
	v_cndmask_b32_e32 v1, v1, v6, vcc
	v_lshrrev_b32_e32 v6, 16, v7
	v_and_or_b32 v1, v6, s15, v1
	v_and_or_b32 v6, v9, s11, v8
	v_cmp_ne_u32_e32 vcc, 0, v6
	v_cndmask_b32_e64 v6, 0, 1, vcc
	v_lshrrev_b32_e32 v7, 8, v9
	v_bfe_u32 v8, v9, 20, 11
	v_and_or_b32 v6, v7, s10, v6
	v_sub_u32_e32 v10, 0x3f1, v8
	v_or_b32_e32 v7, 0x1000, v6
	v_med3_i32 v10, v10, 0, 13
	v_lshrrev_b32_e32 v11, v10, v7
	v_lshlrev_b32_e32 v10, v10, v11
	v_cmp_ne_u32_e32 vcc, v10, v7
	v_cndmask_b32_e64 v7, 0, 1, vcc
	v_add_u32_e32 v8, 0xfffffc10, v8
	v_or_b32_e32 v7, v11, v7
	v_lshl_or_b32 v10, v8, 12, v6
	v_cmp_gt_i32_e32 vcc, 1, v8
	v_cndmask_b32_e32 v7, v10, v7, vcc
	v_and_b32_e32 v10, 7, v7
	v_cmp_lt_i32_e32 vcc, 5, v10
	v_cmp_eq_u32_e64 s[2:3], 3, v10
	v_lshrrev_b32_e32 v7, 2, v7
	s_or_b64 vcc, s[2:3], vcc
	v_addc_co_u32_e32 v7, vcc, 0, v7, vcc
	v_cmp_gt_i32_e32 vcc, 31, v8
	v_cndmask_b32_e32 v7, v2, v7, vcc
	v_cmp_ne_u32_e32 vcc, 0, v6
	v_cndmask_b32_e64 v6, 0, 1, vcc
	v_lshl_or_b32 v6, v6, 9, v2
	v_cmp_eq_u32_e32 vcc, s14, v8
	v_cndmask_b32_e32 v6, v7, v6, vcc
	v_lshrrev_b32_e32 v7, 16, v9
	v_lshrrev_b32_e32 v9, 16, v3
	v_and_or_b32 v8, v7, s15, v6
	v_mul_f16_sdwa v6, v67, v9 dst_sel:DWORD dst_unused:UNUSED_PAD src0_sel:WORD_1 src1_sel:DWORD
	v_fma_f16 v6, v67, v3, v6
	v_cvt_f32_f16_e32 v6, v6
	s_mul_i32 s2, s9, 0x1a4
	s_mul_hi_u32 s3, s8, 0x1a4
	s_add_i32 s3, s3, s2
	v_cvt_f64_f32_e32 v[6:7], v6
	s_mul_i32 s2, s8, 0x1a4
	v_and_b32_e32 v1, 0xffff, v1
	s_lshl_b64 s[6:7], s[2:3], 2
	v_mul_f64 v[6:7], v[6:7], s[12:13]
	v_lshl_or_b32 v8, v8, 16, v1
	v_mov_b32_e32 v1, s7
	v_add_co_u32_e32 v4, vcc, s6, v4
	v_addc_co_u32_e32 v5, vcc, v5, v1, vcc
	global_store_dword v[4:5], v8, off
	v_and_or_b32 v6, v7, s11, v6
	v_cmp_ne_u32_e32 vcc, 0, v6
	v_cndmask_b32_e64 v6, 0, 1, vcc
	v_lshrrev_b32_e32 v8, 8, v7
	v_bfe_u32 v10, v7, 20, 11
	v_and_or_b32 v6, v8, s10, v6
	v_sub_u32_e32 v11, 0x3f1, v10
	v_or_b32_e32 v8, 0x1000, v6
	v_med3_i32 v11, v11, 0, 13
	v_lshrrev_b32_e32 v12, v11, v8
	v_lshlrev_b32_e32 v11, v11, v12
	v_mul_f16_sdwa v3, v67, v3 dst_sel:DWORD dst_unused:UNUSED_PAD src0_sel:WORD_1 src1_sel:DWORD
	v_cmp_ne_u32_e32 vcc, v11, v8
	v_fma_f16 v3, v67, v9, -v3
	v_cndmask_b32_e64 v8, 0, 1, vcc
	v_add_u32_e32 v10, 0xfffffc10, v10
	v_cvt_f32_f16_e32 v3, v3
	v_or_b32_e32 v8, v12, v8
	v_lshl_or_b32 v11, v10, 12, v6
	v_cmp_gt_i32_e32 vcc, 1, v10
	v_cndmask_b32_e32 v8, v11, v8, vcc
	v_and_b32_e32 v11, 7, v8
	v_cmp_lt_i32_e32 vcc, 5, v11
	v_cmp_eq_u32_e64 s[2:3], 3, v11
	v_lshrrev_b32_e32 v11, 2, v8
	v_cvt_f64_f32_e32 v[8:9], v3
	s_or_b64 vcc, s[2:3], vcc
	v_addc_co_u32_e32 v3, vcc, 0, v11, vcc
	v_mul_f64 v[8:9], v[8:9], s[12:13]
	v_cmp_gt_i32_e32 vcc, 31, v10
	v_cndmask_b32_e32 v3, v2, v3, vcc
	v_cmp_ne_u32_e32 vcc, 0, v6
	v_cndmask_b32_e64 v6, 0, 1, vcc
	v_lshl_or_b32 v6, v6, 9, v2
	v_cmp_eq_u32_e32 vcc, s14, v10
	v_cndmask_b32_e32 v3, v3, v6, vcc
	v_lshrrev_b32_e32 v6, 16, v7
	v_and_or_b32 v3, v6, s15, v3
	v_and_or_b32 v6, v9, s11, v8
	v_cmp_ne_u32_e32 vcc, 0, v6
	v_cndmask_b32_e64 v6, 0, 1, vcc
	v_lshrrev_b32_e32 v7, 8, v9
	v_bfe_u32 v8, v9, 20, 11
	v_and_or_b32 v6, v7, s10, v6
	v_sub_u32_e32 v10, 0x3f1, v8
	v_or_b32_e32 v7, 0x1000, v6
	v_med3_i32 v10, v10, 0, 13
	v_lshrrev_b32_e32 v11, v10, v7
	v_lshlrev_b32_e32 v10, v10, v11
	v_cmp_ne_u32_e32 vcc, v10, v7
	v_cndmask_b32_e64 v7, 0, 1, vcc
	v_add_u32_e32 v8, 0xfffffc10, v8
	v_or_b32_e32 v7, v11, v7
	v_lshl_or_b32 v10, v8, 12, v6
	v_cmp_gt_i32_e32 vcc, 1, v8
	v_cndmask_b32_e32 v7, v10, v7, vcc
	v_and_b32_e32 v10, 7, v7
	v_cmp_lt_i32_e32 vcc, 5, v10
	v_cmp_eq_u32_e64 s[2:3], 3, v10
	v_lshrrev_b32_e32 v7, 2, v7
	s_or_b64 vcc, s[2:3], vcc
	v_addc_co_u32_e32 v7, vcc, 0, v7, vcc
	v_cmp_gt_i32_e32 vcc, 31, v8
	v_cndmask_b32_e32 v10, v2, v7, vcc
	v_cmp_ne_u32_e32 vcc, 0, v6
	v_cndmask_b32_e64 v6, 0, 1, vcc
	v_lshl_or_b32 v11, v6, 9, v2
	v_add_u32_e32 v6, 0x600, v55
	ds_read2_b32 v[6:7], v6 offset0:92 offset1:148
	v_cmp_eq_u32_e32 vcc, s14, v8
	v_cndmask_b32_e32 v8, v10, v11, vcc
	v_lshrrev_b32_e32 v9, 16, v9
	v_and_or_b32 v10, v9, s15, v8
	s_waitcnt lgkmcnt(0)
	v_lshrrev_b32_e32 v11, 16, v6
	v_mul_f16_sdwa v8, v66, v11 dst_sel:DWORD dst_unused:UNUSED_PAD src0_sel:WORD_1 src1_sel:DWORD
	v_fma_f16 v8, v66, v6, v8
	v_cvt_f32_f16_e32 v8, v8
	s_mul_hi_u32 s3, s8, 0xfffffe94
	s_mul_i32 s2, s9, 0xfffffe94
	s_sub_i32 s3, s3, s8
	v_cvt_f64_f32_e32 v[8:9], v8
	s_add_i32 s3, s3, s2
	s_mul_i32 s2, s8, 0xfffffe94
	v_and_b32_e32 v3, 0xffff, v3
	v_mul_f64 v[8:9], v[8:9], s[12:13]
	s_lshl_b64 s[4:5], s[2:3], 2
	v_lshl_or_b32 v10, v10, 16, v3
	v_mov_b32_e32 v3, s5
	v_add_co_u32_e32 v4, vcc, s4, v4
	v_addc_co_u32_e32 v5, vcc, v5, v3, vcc
	v_and_or_b32 v8, v9, s11, v8
	v_cmp_ne_u32_e32 vcc, 0, v8
	global_store_dword v[4:5], v10, off
	v_cndmask_b32_e64 v8, 0, 1, vcc
	v_lshrrev_b32_e32 v10, 8, v9
	v_bfe_u32 v12, v9, 20, 11
	v_and_or_b32 v8, v10, s10, v8
	v_sub_u32_e32 v13, 0x3f1, v12
	v_or_b32_e32 v10, 0x1000, v8
	v_med3_i32 v13, v13, 0, 13
	v_lshrrev_b32_e32 v14, v13, v10
	v_lshlrev_b32_e32 v13, v13, v14
	v_mul_f16_sdwa v6, v66, v6 dst_sel:DWORD dst_unused:UNUSED_PAD src0_sel:WORD_1 src1_sel:DWORD
	v_cmp_ne_u32_e32 vcc, v13, v10
	v_fma_f16 v6, v66, v11, -v6
	v_cndmask_b32_e64 v10, 0, 1, vcc
	v_add_u32_e32 v12, 0xfffffc10, v12
	v_cvt_f32_f16_e32 v6, v6
	v_or_b32_e32 v10, v14, v10
	v_lshl_or_b32 v13, v12, 12, v8
	v_cmp_gt_i32_e32 vcc, 1, v12
	v_cndmask_b32_e32 v10, v13, v10, vcc
	v_and_b32_e32 v13, 7, v10
	v_cmp_lt_i32_e32 vcc, 5, v13
	v_cmp_eq_u32_e64 s[2:3], 3, v13
	v_lshrrev_b32_e32 v13, 2, v10
	v_cvt_f64_f32_e32 v[10:11], v6
	s_or_b64 vcc, s[2:3], vcc
	v_addc_co_u32_e32 v6, vcc, 0, v13, vcc
	v_mul_f64 v[10:11], v[10:11], s[12:13]
	v_cmp_gt_i32_e32 vcc, 31, v12
	v_cndmask_b32_e32 v6, v2, v6, vcc
	v_cmp_ne_u32_e32 vcc, 0, v8
	v_cndmask_b32_e64 v8, 0, 1, vcc
	v_lshl_or_b32 v8, v8, 9, v2
	v_cmp_eq_u32_e32 vcc, s14, v12
	v_cndmask_b32_e32 v6, v6, v8, vcc
	v_lshrrev_b32_e32 v8, 16, v9
	v_and_or_b32 v6, v8, s15, v6
	v_and_or_b32 v8, v11, s11, v10
	v_cmp_ne_u32_e32 vcc, 0, v8
	v_cndmask_b32_e64 v8, 0, 1, vcc
	v_lshrrev_b32_e32 v9, 8, v11
	v_and_or_b32 v10, v9, s10, v8
	v_bfe_u32 v9, v11, 20, 11
	v_sub_u32_e32 v12, 0x3f1, v9
	v_or_b32_e32 v8, 0x1000, v10
	v_med3_i32 v12, v12, 0, 13
	v_lshrrev_b32_e32 v13, v12, v8
	v_lshlrev_b32_e32 v12, v12, v13
	v_cmp_ne_u32_e32 vcc, v12, v8
	v_cndmask_b32_e64 v8, 0, 1, vcc
	v_add_u32_e32 v14, 0xfffffc10, v9
	v_or_b32_e32 v8, v13, v8
	v_lshl_or_b32 v9, v14, 12, v10
	v_cmp_gt_i32_e32 vcc, 1, v14
	v_cndmask_b32_e32 v8, v9, v8, vcc
	v_and_b32_e32 v9, 7, v8
	v_cmp_lt_i32_e32 vcc, 5, v9
	v_cmp_eq_u32_e64 s[2:3], 3, v9
	v_lshrrev_b32_e32 v12, 2, v8
	ds_read2_b32 v[8:9], v55 offset0:112 offset1:168
	s_or_b64 vcc, s[2:3], vcc
	v_addc_co_u32_e32 v12, vcc, 0, v12, vcc
	v_cmp_gt_i32_e32 vcc, 31, v14
	s_waitcnt lgkmcnt(0)
	v_lshrrev_b32_e32 v16, 16, v8
	v_cndmask_b32_e32 v15, v2, v12, vcc
	v_mul_f16_sdwa v12, v65, v16 dst_sel:DWORD dst_unused:UNUSED_PAD src0_sel:WORD_1 src1_sel:DWORD
	v_fma_f16 v12, v65, v8, v12
	v_cvt_f32_f16_e32 v12, v12
	v_cmp_ne_u32_e32 vcc, 0, v10
	v_cndmask_b32_e64 v10, 0, 1, vcc
	v_lshl_or_b32 v10, v10, 9, v2
	v_cvt_f64_f32_e32 v[12:13], v12
	v_cmp_eq_u32_e32 vcc, s14, v14
	v_cndmask_b32_e32 v10, v15, v10, vcc
	v_lshrrev_b32_e32 v11, 16, v11
	v_and_or_b32 v14, v11, s15, v10
	v_mul_f64 v[10:11], v[12:13], s[12:13]
	v_and_b32_e32 v6, 0xffff, v6
	v_add_co_u32_e32 v4, vcc, s6, v4
	v_lshl_or_b32 v6, v14, 16, v6
	v_addc_co_u32_e32 v5, vcc, v5, v1, vcc
	global_store_dword v[4:5], v6, off
	v_and_or_b32 v6, v11, s11, v10
	v_cmp_ne_u32_e32 vcc, 0, v6
	v_cndmask_b32_e64 v6, 0, 1, vcc
	v_lshrrev_b32_e32 v10, 8, v11
	v_bfe_u32 v12, v11, 20, 11
	v_and_or_b32 v6, v10, s10, v6
	v_sub_u32_e32 v13, 0x3f1, v12
	v_or_b32_e32 v10, 0x1000, v6
	v_med3_i32 v13, v13, 0, 13
	v_lshrrev_b32_e32 v14, v13, v10
	v_lshlrev_b32_e32 v13, v13, v14
	v_cmp_ne_u32_e32 vcc, v13, v10
	v_mul_f16_sdwa v8, v65, v8 dst_sel:DWORD dst_unused:UNUSED_PAD src0_sel:WORD_1 src1_sel:DWORD
	v_cndmask_b32_e64 v10, 0, 1, vcc
	v_fma_f16 v8, v65, v16, -v8
	v_or_b32_e32 v10, v14, v10
	v_add_u32_e32 v14, 0xfffffc10, v12
	v_cvt_f32_f16_e32 v8, v8
	v_lshl_or_b32 v12, v14, 12, v6
	v_cmp_gt_i32_e32 vcc, 1, v14
	v_cndmask_b32_e32 v10, v12, v10, vcc
	v_and_b32_e32 v12, 7, v10
	v_cmp_lt_i32_e32 vcc, 5, v12
	v_cmp_eq_u32_e64 s[2:3], 3, v12
	v_cvt_f64_f32_e32 v[12:13], v8
	v_lshrrev_b32_e32 v10, 2, v10
	s_or_b64 vcc, s[2:3], vcc
	v_addc_co_u32_e32 v8, vcc, 0, v10, vcc
	v_mul_f64 v[12:13], v[12:13], s[12:13]
	v_cmp_gt_i32_e32 vcc, 31, v14
	v_cndmask_b32_e32 v8, v2, v8, vcc
	v_cmp_ne_u32_e32 vcc, 0, v6
	v_cndmask_b32_e64 v6, 0, 1, vcc
	v_lshl_or_b32 v6, v6, 9, v2
	v_cmp_eq_u32_e32 vcc, s14, v14
	v_cndmask_b32_e32 v6, v8, v6, vcc
	v_lshrrev_b32_e32 v8, 16, v11
	v_and_or_b32 v6, v8, s15, v6
	v_and_or_b32 v8, v13, s11, v12
	v_cmp_ne_u32_e32 vcc, 0, v8
	v_cndmask_b32_e64 v8, 0, 1, vcc
	v_lshrrev_b32_e32 v10, 8, v13
	v_bfe_u32 v11, v13, 20, 11
	v_and_or_b32 v8, v10, s10, v8
	v_sub_u32_e32 v12, 0x3f1, v11
	v_or_b32_e32 v10, 0x1000, v8
	v_med3_i32 v12, v12, 0, 13
	v_lshrrev_b32_e32 v14, v12, v10
	v_lshlrev_b32_e32 v12, v12, v14
	v_cmp_ne_u32_e32 vcc, v12, v10
	v_cndmask_b32_e64 v10, 0, 1, vcc
	v_add_u32_e32 v12, 0xfffffc10, v11
	v_or_b32_e32 v10, v14, v10
	v_lshl_or_b32 v11, v12, 12, v8
	v_cmp_gt_i32_e32 vcc, 1, v12
	v_cndmask_b32_e32 v10, v11, v10, vcc
	v_and_b32_e32 v11, 7, v10
	v_cmp_lt_i32_e32 vcc, 5, v11
	v_cmp_eq_u32_e64 s[2:3], 3, v11
	v_lshrrev_b32_e32 v10, 2, v10
	s_or_b64 vcc, s[2:3], vcc
	v_addc_co_u32_e32 v10, vcc, 0, v10, vcc
	v_cmp_gt_i32_e32 vcc, 31, v12
	v_lshrrev_b32_e32 v15, 16, v7
	v_cndmask_b32_e32 v14, v2, v10, vcc
	v_mul_f16_sdwa v10, v64, v15 dst_sel:DWORD dst_unused:UNUSED_PAD src0_sel:WORD_1 src1_sel:DWORD
	v_fma_f16 v10, v64, v7, v10
	v_cvt_f32_f16_e32 v10, v10
	v_cmp_ne_u32_e32 vcc, 0, v8
	v_cndmask_b32_e64 v8, 0, 1, vcc
	v_lshl_or_b32 v8, v8, 9, v2
	v_cvt_f64_f32_e32 v[10:11], v10
	v_cmp_eq_u32_e32 vcc, s14, v12
	v_cndmask_b32_e32 v8, v14, v8, vcc
	v_lshrrev_b32_e32 v12, 16, v13
	v_mul_f64 v[10:11], v[10:11], s[12:13]
	v_and_or_b32 v8, v12, s15, v8
	v_and_b32_e32 v6, 0xffff, v6
	v_add_co_u32_e32 v4, vcc, s4, v4
	v_lshl_or_b32 v6, v8, 16, v6
	v_addc_co_u32_e32 v5, vcc, v5, v3, vcc
	global_store_dword v[4:5], v6, off
	v_and_or_b32 v6, v11, s11, v10
	v_cmp_ne_u32_e32 vcc, 0, v6
	v_cndmask_b32_e64 v6, 0, 1, vcc
	v_lshrrev_b32_e32 v8, 8, v11
	v_bfe_u32 v10, v11, 20, 11
	v_and_or_b32 v8, v8, s10, v6
	v_sub_u32_e32 v12, 0x3f1, v10
	v_or_b32_e32 v6, 0x1000, v8
	v_med3_i32 v12, v12, 0, 13
	v_lshrrev_b32_e32 v13, v12, v6
	v_lshlrev_b32_e32 v12, v12, v13
	v_mul_f16_sdwa v7, v64, v7 dst_sel:DWORD dst_unused:UNUSED_PAD src0_sel:WORD_1 src1_sel:DWORD
	v_cmp_ne_u32_e32 vcc, v12, v6
	v_fma_f16 v7, v64, v15, -v7
	v_cndmask_b32_e64 v6, 0, 1, vcc
	v_add_u32_e32 v10, 0xfffffc10, v10
	v_cvt_f32_f16_e32 v7, v7
	v_or_b32_e32 v6, v13, v6
	v_lshl_or_b32 v12, v10, 12, v8
	v_cmp_gt_i32_e32 vcc, 1, v10
	v_cndmask_b32_e32 v6, v12, v6, vcc
	v_and_b32_e32 v12, 7, v6
	v_cmp_lt_i32_e32 vcc, 5, v12
	v_cmp_eq_u32_e64 s[2:3], 3, v12
	v_lshrrev_b32_e32 v12, 2, v6
	v_cvt_f64_f32_e32 v[6:7], v7
	s_or_b64 vcc, s[2:3], vcc
	v_addc_co_u32_e32 v12, vcc, 0, v12, vcc
	v_mul_f64 v[6:7], v[6:7], s[12:13]
	v_cmp_gt_i32_e32 vcc, 31, v10
	v_cndmask_b32_e32 v12, v2, v12, vcc
	v_cmp_ne_u32_e32 vcc, 0, v8
	v_cndmask_b32_e64 v8, 0, 1, vcc
	v_lshl_or_b32 v8, v8, 9, v2
	v_cmp_eq_u32_e32 vcc, s14, v10
	v_cndmask_b32_e32 v8, v12, v8, vcc
	v_and_or_b32 v6, v7, s11, v6
	v_lshrrev_b32_e32 v10, 16, v11
	v_cmp_ne_u32_e32 vcc, 0, v6
	v_and_or_b32 v8, v10, s15, v8
	v_cndmask_b32_e64 v6, 0, 1, vcc
	v_lshrrev_b32_e32 v10, 8, v7
	v_bfe_u32 v11, v7, 20, 11
	v_and_or_b32 v6, v10, s10, v6
	v_sub_u32_e32 v12, 0x3f1, v11
	v_or_b32_e32 v10, 0x1000, v6
	v_med3_i32 v12, v12, 0, 13
	v_lshrrev_b32_e32 v13, v12, v10
	v_lshlrev_b32_e32 v12, v12, v13
	v_cmp_ne_u32_e32 vcc, v12, v10
	v_cndmask_b32_e64 v10, 0, 1, vcc
	v_add_u32_e32 v12, 0xfffffc10, v11
	v_or_b32_e32 v10, v13, v10
	v_lshl_or_b32 v11, v12, 12, v6
	v_cmp_gt_i32_e32 vcc, 1, v12
	v_cndmask_b32_e32 v10, v11, v10, vcc
	v_and_b32_e32 v11, 7, v10
	v_cmp_lt_i32_e32 vcc, 5, v11
	v_cmp_eq_u32_e64 s[2:3], 3, v11
	v_lshrrev_b32_e32 v10, 2, v10
	s_or_b64 vcc, s[2:3], vcc
	v_addc_co_u32_e32 v10, vcc, 0, v10, vcc
	v_cmp_gt_i32_e32 vcc, 31, v12
	v_lshrrev_b32_e32 v14, 16, v9
	v_cndmask_b32_e32 v13, v2, v10, vcc
	v_mul_f16_sdwa v10, v63, v14 dst_sel:DWORD dst_unused:UNUSED_PAD src0_sel:WORD_1 src1_sel:DWORD
	v_fma_f16 v10, v63, v9, v10
	v_cvt_f32_f16_e32 v10, v10
	v_cmp_ne_u32_e32 vcc, 0, v6
	v_cndmask_b32_e64 v6, 0, 1, vcc
	v_lshl_or_b32 v6, v6, 9, v2
	v_cvt_f64_f32_e32 v[10:11], v10
	v_cmp_eq_u32_e32 vcc, s14, v12
	v_cndmask_b32_e32 v6, v13, v6, vcc
	v_lshrrev_b32_e32 v7, 16, v7
	v_and_or_b32 v12, v7, s15, v6
	v_mul_f64 v[6:7], v[10:11], s[12:13]
	v_add_co_u32_e32 v4, vcc, s6, v4
	v_and_b32_e32 v8, 0xffff, v8
	v_addc_co_u32_e32 v5, vcc, v5, v1, vcc
	v_lshl_or_b32 v8, v12, 16, v8
	global_store_dword v[4:5], v8, off
	v_and_or_b32 v6, v7, s11, v6
	v_cmp_ne_u32_e32 vcc, 0, v6
	v_cndmask_b32_e64 v6, 0, 1, vcc
	v_lshrrev_b32_e32 v8, 8, v7
	v_bfe_u32 v10, v7, 20, 11
	v_and_or_b32 v6, v8, s10, v6
	v_sub_u32_e32 v11, 0x3f1, v10
	v_or_b32_e32 v8, 0x1000, v6
	v_med3_i32 v11, v11, 0, 13
	v_lshrrev_b32_e32 v12, v11, v8
	v_lshlrev_b32_e32 v11, v11, v12
	v_mul_f16_sdwa v9, v63, v9 dst_sel:DWORD dst_unused:UNUSED_PAD src0_sel:WORD_1 src1_sel:DWORD
	v_cmp_ne_u32_e32 vcc, v11, v8
	v_fma_f16 v9, v63, v14, -v9
	v_cndmask_b32_e64 v8, 0, 1, vcc
	v_add_u32_e32 v10, 0xfffffc10, v10
	v_cvt_f32_f16_e32 v9, v9
	v_or_b32_e32 v8, v12, v8
	v_lshl_or_b32 v11, v10, 12, v6
	v_cmp_gt_i32_e32 vcc, 1, v10
	v_cndmask_b32_e32 v8, v11, v8, vcc
	v_and_b32_e32 v11, 7, v8
	v_cmp_lt_i32_e32 vcc, 5, v11
	v_cmp_eq_u32_e64 s[2:3], 3, v11
	v_lshrrev_b32_e32 v11, 2, v8
	v_cvt_f64_f32_e32 v[8:9], v9
	s_or_b64 vcc, s[2:3], vcc
	v_addc_co_u32_e32 v11, vcc, 0, v11, vcc
	v_mul_f64 v[8:9], v[8:9], s[12:13]
	v_cmp_gt_i32_e32 vcc, 31, v10
	v_cndmask_b32_e32 v11, v2, v11, vcc
	v_cmp_ne_u32_e32 vcc, 0, v6
	v_cndmask_b32_e64 v6, 0, 1, vcc
	v_lshl_or_b32 v6, v6, 9, v2
	v_cmp_eq_u32_e32 vcc, s14, v10
	v_cndmask_b32_e32 v6, v11, v6, vcc
	v_lshrrev_b32_e32 v7, 16, v7
	v_and_or_b32 v12, v7, s15, v6
	v_and_or_b32 v6, v9, s11, v8
	v_cmp_ne_u32_e32 vcc, 0, v6
	v_cndmask_b32_e64 v6, 0, 1, vcc
	v_lshrrev_b32_e32 v7, 8, v9
	v_and_or_b32 v8, v7, s10, v6
	v_bfe_u32 v7, v9, 20, 11
	v_sub_u32_e32 v10, 0x3f1, v7
	v_or_b32_e32 v6, 0x1000, v8
	v_med3_i32 v10, v10, 0, 13
	v_lshrrev_b32_e32 v11, v10, v6
	v_lshlrev_b32_e32 v10, v10, v11
	v_cmp_ne_u32_e32 vcc, v10, v6
	v_cndmask_b32_e64 v6, 0, 1, vcc
	v_add_u32_e32 v13, 0xfffffc10, v7
	v_or_b32_e32 v6, v11, v6
	v_lshl_or_b32 v7, v13, 12, v8
	v_cmp_gt_i32_e32 vcc, 1, v13
	v_cndmask_b32_e32 v6, v7, v6, vcc
	v_and_b32_e32 v7, 7, v6
	v_add_u32_e32 v14, 0x800, v55
	v_cmp_lt_i32_e32 vcc, 5, v7
	v_cmp_eq_u32_e64 s[2:3], 3, v7
	v_lshrrev_b32_e32 v10, 2, v6
	ds_read2_b32 v[6:7], v14 offset0:76 offset1:132
	s_or_b64 vcc, s[2:3], vcc
	v_addc_co_u32_e32 v10, vcc, 0, v10, vcc
	v_cmp_gt_i32_e32 vcc, 31, v13
	s_waitcnt lgkmcnt(0)
	v_lshrrev_b32_e32 v16, 16, v6
	v_cndmask_b32_e32 v15, v2, v10, vcc
	v_mul_f16_sdwa v10, v62, v16 dst_sel:DWORD dst_unused:UNUSED_PAD src0_sel:WORD_1 src1_sel:DWORD
	v_fma_f16 v10, v62, v6, v10
	v_cvt_f32_f16_e32 v10, v10
	v_cmp_ne_u32_e32 vcc, 0, v8
	v_cndmask_b32_e64 v8, 0, 1, vcc
	v_lshl_or_b32 v8, v8, 9, v2
	v_cvt_f64_f32_e32 v[10:11], v10
	v_cmp_eq_u32_e32 vcc, s14, v13
	v_cndmask_b32_e32 v8, v15, v8, vcc
	v_lshrrev_b32_e32 v9, 16, v9
	v_and_or_b32 v13, v9, s15, v8
	v_mul_f64 v[8:9], v[10:11], s[12:13]
	v_add_co_u32_e32 v4, vcc, s4, v4
	v_and_b32_e32 v10, 0xffff, v12
	v_addc_co_u32_e32 v5, vcc, v5, v3, vcc
	v_lshl_or_b32 v10, v13, 16, v10
	global_store_dword v[4:5], v10, off
	v_and_or_b32 v8, v9, s11, v8
	v_cmp_ne_u32_e32 vcc, 0, v8
	v_cndmask_b32_e64 v8, 0, 1, vcc
	v_lshrrev_b32_e32 v10, 8, v9
	v_bfe_u32 v11, v9, 20, 11
	v_and_or_b32 v8, v10, s10, v8
	v_sub_u32_e32 v12, 0x3f1, v11
	v_or_b32_e32 v10, 0x1000, v8
	v_med3_i32 v12, v12, 0, 13
	v_lshrrev_b32_e32 v13, v12, v10
	v_lshlrev_b32_e32 v12, v12, v13
	v_mul_f16_sdwa v6, v62, v6 dst_sel:DWORD dst_unused:UNUSED_PAD src0_sel:WORD_1 src1_sel:DWORD
	v_cmp_ne_u32_e32 vcc, v12, v10
	v_fma_f16 v6, v62, v16, -v6
	v_cndmask_b32_e64 v10, 0, 1, vcc
	v_add_u32_e32 v12, 0xfffffc10, v11
	v_cvt_f32_f16_e32 v6, v6
	v_or_b32_e32 v10, v13, v10
	v_lshl_or_b32 v11, v12, 12, v8
	v_cmp_gt_i32_e32 vcc, 1, v12
	v_cndmask_b32_e32 v10, v11, v10, vcc
	v_and_b32_e32 v11, 7, v10
	v_cmp_lt_i32_e32 vcc, 5, v11
	v_cmp_eq_u32_e64 s[2:3], 3, v11
	v_lshrrev_b32_e32 v13, 2, v10
	v_cvt_f64_f32_e32 v[10:11], v6
	s_or_b64 vcc, s[2:3], vcc
	v_addc_co_u32_e32 v6, vcc, 0, v13, vcc
	v_mul_f64 v[10:11], v[10:11], s[12:13]
	v_cmp_gt_i32_e32 vcc, 31, v12
	v_cndmask_b32_e32 v6, v2, v6, vcc
	v_cmp_ne_u32_e32 vcc, 0, v8
	v_cndmask_b32_e64 v8, 0, 1, vcc
	v_lshl_or_b32 v8, v8, 9, v2
	v_cmp_eq_u32_e32 vcc, s14, v12
	v_cndmask_b32_e32 v6, v6, v8, vcc
	v_lshrrev_b32_e32 v8, 16, v9
	v_and_or_b32 v6, v8, s15, v6
	v_and_or_b32 v8, v11, s11, v10
	v_cmp_ne_u32_e32 vcc, 0, v8
	v_cndmask_b32_e64 v8, 0, 1, vcc
	v_lshrrev_b32_e32 v9, 8, v11
	v_and_or_b32 v10, v9, s10, v8
	v_bfe_u32 v9, v11, 20, 11
	v_sub_u32_e32 v12, 0x3f1, v9
	v_or_b32_e32 v8, 0x1000, v10
	v_med3_i32 v12, v12, 0, 13
	v_lshrrev_b32_e32 v13, v12, v8
	v_lshlrev_b32_e32 v12, v12, v13
	v_cmp_ne_u32_e32 vcc, v12, v8
	v_cndmask_b32_e64 v8, 0, 1, vcc
	v_add_u32_e32 v15, 0xfffffc10, v9
	v_or_b32_e32 v8, v13, v8
	v_lshl_or_b32 v9, v15, 12, v10
	v_cmp_gt_i32_e32 vcc, 1, v15
	v_cndmask_b32_e32 v8, v9, v8, vcc
	v_and_b32_e32 v9, 7, v8
	v_lshrrev_b32_e32 v12, 2, v8
	v_add_u32_e32 v8, 0x200, v55
	v_cmp_lt_i32_e32 vcc, 5, v9
	v_cmp_eq_u32_e64 s[2:3], 3, v9
	ds_read2_b32 v[8:9], v8 offset0:96 offset1:152
	s_or_b64 vcc, s[2:3], vcc
	v_addc_co_u32_e32 v12, vcc, 0, v12, vcc
	v_cmp_gt_i32_e32 vcc, 31, v15
	s_waitcnt lgkmcnt(0)
	v_lshrrev_b32_e32 v17, 16, v8
	v_cndmask_b32_e32 v16, v2, v12, vcc
	v_mul_f16_sdwa v12, v61, v17 dst_sel:DWORD dst_unused:UNUSED_PAD src0_sel:WORD_1 src1_sel:DWORD
	v_fma_f16 v12, v61, v8, v12
	v_cvt_f32_f16_e32 v12, v12
	v_cmp_ne_u32_e32 vcc, 0, v10
	v_cndmask_b32_e64 v10, 0, 1, vcc
	v_lshl_or_b32 v10, v10, 9, v2
	v_cvt_f64_f32_e32 v[12:13], v12
	v_cmp_eq_u32_e32 vcc, s14, v15
	v_cndmask_b32_e32 v10, v16, v10, vcc
	v_lshrrev_b32_e32 v11, 16, v11
	v_and_or_b32 v15, v11, s15, v10
	v_mul_f64 v[10:11], v[12:13], s[12:13]
	v_and_b32_e32 v6, 0xffff, v6
	v_add_co_u32_e32 v4, vcc, s6, v4
	v_lshl_or_b32 v6, v15, 16, v6
	v_addc_co_u32_e32 v5, vcc, v5, v1, vcc
	global_store_dword v[4:5], v6, off
	v_and_or_b32 v6, v11, s11, v10
	v_cmp_ne_u32_e32 vcc, 0, v6
	v_cndmask_b32_e64 v6, 0, 1, vcc
	v_lshrrev_b32_e32 v10, 8, v11
	v_bfe_u32 v12, v11, 20, 11
	v_and_or_b32 v6, v10, s10, v6
	v_sub_u32_e32 v13, 0x3f1, v12
	v_or_b32_e32 v10, 0x1000, v6
	v_med3_i32 v13, v13, 0, 13
	v_lshrrev_b32_e32 v15, v13, v10
	v_lshlrev_b32_e32 v13, v13, v15
	v_cmp_ne_u32_e32 vcc, v13, v10
	v_mul_f16_sdwa v8, v61, v8 dst_sel:DWORD dst_unused:UNUSED_PAD src0_sel:WORD_1 src1_sel:DWORD
	v_cndmask_b32_e64 v10, 0, 1, vcc
	v_fma_f16 v8, v61, v17, -v8
	v_or_b32_e32 v10, v15, v10
	v_add_u32_e32 v15, 0xfffffc10, v12
	v_cvt_f32_f16_e32 v8, v8
	v_lshl_or_b32 v12, v15, 12, v6
	v_cmp_gt_i32_e32 vcc, 1, v15
	v_cndmask_b32_e32 v10, v12, v10, vcc
	v_and_b32_e32 v12, 7, v10
	v_cmp_lt_i32_e32 vcc, 5, v12
	v_cmp_eq_u32_e64 s[2:3], 3, v12
	v_cvt_f64_f32_e32 v[12:13], v8
	v_lshrrev_b32_e32 v10, 2, v10
	s_or_b64 vcc, s[2:3], vcc
	v_addc_co_u32_e32 v8, vcc, 0, v10, vcc
	v_mul_f64 v[12:13], v[12:13], s[12:13]
	v_cmp_gt_i32_e32 vcc, 31, v15
	v_cndmask_b32_e32 v8, v2, v8, vcc
	v_cmp_ne_u32_e32 vcc, 0, v6
	v_cndmask_b32_e64 v6, 0, 1, vcc
	v_lshl_or_b32 v6, v6, 9, v2
	v_cmp_eq_u32_e32 vcc, s14, v15
	v_cndmask_b32_e32 v6, v8, v6, vcc
	v_lshrrev_b32_e32 v8, 16, v11
	v_and_or_b32 v6, v8, s15, v6
	v_and_or_b32 v8, v13, s11, v12
	v_cmp_ne_u32_e32 vcc, 0, v8
	v_cndmask_b32_e64 v8, 0, 1, vcc
	v_lshrrev_b32_e32 v10, 8, v13
	v_bfe_u32 v11, v13, 20, 11
	v_and_or_b32 v8, v10, s10, v8
	v_sub_u32_e32 v12, 0x3f1, v11
	v_or_b32_e32 v10, 0x1000, v8
	v_med3_i32 v12, v12, 0, 13
	v_lshrrev_b32_e32 v15, v12, v10
	v_lshlrev_b32_e32 v12, v12, v15
	v_cmp_ne_u32_e32 vcc, v12, v10
	v_cndmask_b32_e64 v10, 0, 1, vcc
	v_add_u32_e32 v12, 0xfffffc10, v11
	v_or_b32_e32 v10, v15, v10
	v_lshl_or_b32 v11, v12, 12, v8
	v_cmp_gt_i32_e32 vcc, 1, v12
	v_cndmask_b32_e32 v10, v11, v10, vcc
	v_and_b32_e32 v11, 7, v10
	v_cmp_lt_i32_e32 vcc, 5, v11
	v_cmp_eq_u32_e64 s[2:3], 3, v11
	v_lshrrev_b32_e32 v10, 2, v10
	s_or_b64 vcc, s[2:3], vcc
	v_addc_co_u32_e32 v10, vcc, 0, v10, vcc
	v_cmp_gt_i32_e32 vcc, 31, v12
	v_lshrrev_b32_e32 v16, 16, v7
	v_cndmask_b32_e32 v15, v2, v10, vcc
	v_mul_f16_sdwa v10, v60, v16 dst_sel:DWORD dst_unused:UNUSED_PAD src0_sel:WORD_1 src1_sel:DWORD
	v_fma_f16 v10, v60, v7, v10
	v_cvt_f32_f16_e32 v10, v10
	v_cmp_ne_u32_e32 vcc, 0, v8
	v_cndmask_b32_e64 v8, 0, 1, vcc
	v_lshl_or_b32 v8, v8, 9, v2
	v_cvt_f64_f32_e32 v[10:11], v10
	v_cmp_eq_u32_e32 vcc, s14, v12
	v_cndmask_b32_e32 v8, v15, v8, vcc
	v_lshrrev_b32_e32 v12, 16, v13
	v_mul_f64 v[10:11], v[10:11], s[12:13]
	v_and_or_b32 v8, v12, s15, v8
	v_and_b32_e32 v6, 0xffff, v6
	v_add_co_u32_e32 v4, vcc, s4, v4
	v_lshl_or_b32 v6, v8, 16, v6
	v_addc_co_u32_e32 v5, vcc, v5, v3, vcc
	global_store_dword v[4:5], v6, off
	v_and_or_b32 v6, v11, s11, v10
	v_cmp_ne_u32_e32 vcc, 0, v6
	v_cndmask_b32_e64 v6, 0, 1, vcc
	v_lshrrev_b32_e32 v8, 8, v11
	v_bfe_u32 v10, v11, 20, 11
	v_and_or_b32 v8, v8, s10, v6
	v_sub_u32_e32 v12, 0x3f1, v10
	v_or_b32_e32 v6, 0x1000, v8
	v_med3_i32 v12, v12, 0, 13
	v_lshrrev_b32_e32 v13, v12, v6
	v_lshlrev_b32_e32 v12, v12, v13
	v_mul_f16_sdwa v7, v60, v7 dst_sel:DWORD dst_unused:UNUSED_PAD src0_sel:WORD_1 src1_sel:DWORD
	v_cmp_ne_u32_e32 vcc, v12, v6
	v_fma_f16 v7, v60, v16, -v7
	v_cndmask_b32_e64 v6, 0, 1, vcc
	v_add_u32_e32 v10, 0xfffffc10, v10
	v_cvt_f32_f16_e32 v7, v7
	v_or_b32_e32 v6, v13, v6
	v_lshl_or_b32 v12, v10, 12, v8
	v_cmp_gt_i32_e32 vcc, 1, v10
	v_cndmask_b32_e32 v6, v12, v6, vcc
	v_and_b32_e32 v12, 7, v6
	v_cmp_lt_i32_e32 vcc, 5, v12
	v_cmp_eq_u32_e64 s[2:3], 3, v12
	v_lshrrev_b32_e32 v12, 2, v6
	v_cvt_f64_f32_e32 v[6:7], v7
	s_or_b64 vcc, s[2:3], vcc
	v_addc_co_u32_e32 v12, vcc, 0, v12, vcc
	v_mul_f64 v[6:7], v[6:7], s[12:13]
	v_cmp_gt_i32_e32 vcc, 31, v10
	v_cndmask_b32_e32 v12, v2, v12, vcc
	v_cmp_ne_u32_e32 vcc, 0, v8
	v_cndmask_b32_e64 v8, 0, 1, vcc
	v_lshl_or_b32 v8, v8, 9, v2
	v_cmp_eq_u32_e32 vcc, s14, v10
	v_cndmask_b32_e32 v8, v12, v8, vcc
	v_and_or_b32 v6, v7, s11, v6
	v_lshrrev_b32_e32 v10, 16, v11
	v_cmp_ne_u32_e32 vcc, 0, v6
	v_and_or_b32 v8, v10, s15, v8
	v_cndmask_b32_e64 v6, 0, 1, vcc
	v_lshrrev_b32_e32 v10, 8, v7
	v_bfe_u32 v11, v7, 20, 11
	v_and_or_b32 v6, v10, s10, v6
	v_sub_u32_e32 v12, 0x3f1, v11
	v_or_b32_e32 v10, 0x1000, v6
	v_med3_i32 v12, v12, 0, 13
	v_lshrrev_b32_e32 v13, v12, v10
	v_lshlrev_b32_e32 v12, v12, v13
	v_cmp_ne_u32_e32 vcc, v12, v10
	v_cndmask_b32_e64 v10, 0, 1, vcc
	v_add_u32_e32 v12, 0xfffffc10, v11
	v_or_b32_e32 v10, v13, v10
	v_lshl_or_b32 v11, v12, 12, v6
	v_cmp_gt_i32_e32 vcc, 1, v12
	v_cndmask_b32_e32 v10, v11, v10, vcc
	v_and_b32_e32 v11, 7, v10
	v_cmp_lt_i32_e32 vcc, 5, v11
	v_cmp_eq_u32_e64 s[2:3], 3, v11
	v_lshrrev_b32_e32 v10, 2, v10
	s_or_b64 vcc, s[2:3], vcc
	v_addc_co_u32_e32 v10, vcc, 0, v10, vcc
	v_cmp_gt_i32_e32 vcc, 31, v12
	v_lshrrev_b32_e32 v15, 16, v9
	v_cndmask_b32_e32 v13, v2, v10, vcc
	v_mul_f16_sdwa v10, v59, v15 dst_sel:DWORD dst_unused:UNUSED_PAD src0_sel:WORD_1 src1_sel:DWORD
	v_fma_f16 v10, v59, v9, v10
	v_cvt_f32_f16_e32 v10, v10
	v_cmp_ne_u32_e32 vcc, 0, v6
	v_cndmask_b32_e64 v6, 0, 1, vcc
	v_lshl_or_b32 v6, v6, 9, v2
	v_cvt_f64_f32_e32 v[10:11], v10
	v_cmp_eq_u32_e32 vcc, s14, v12
	v_cndmask_b32_e32 v6, v13, v6, vcc
	v_lshrrev_b32_e32 v7, 16, v7
	v_and_or_b32 v12, v7, s15, v6
	v_mul_f64 v[6:7], v[10:11], s[12:13]
	v_add_co_u32_e32 v4, vcc, s6, v4
	v_and_b32_e32 v8, 0xffff, v8
	v_addc_co_u32_e32 v5, vcc, v5, v1, vcc
	v_lshl_or_b32 v8, v12, 16, v8
	global_store_dword v[4:5], v8, off
	v_and_or_b32 v6, v7, s11, v6
	v_cmp_ne_u32_e32 vcc, 0, v6
	v_cndmask_b32_e64 v6, 0, 1, vcc
	v_lshrrev_b32_e32 v8, 8, v7
	v_bfe_u32 v10, v7, 20, 11
	v_and_or_b32 v6, v8, s10, v6
	v_sub_u32_e32 v11, 0x3f1, v10
	v_or_b32_e32 v8, 0x1000, v6
	v_med3_i32 v11, v11, 0, 13
	v_lshrrev_b32_e32 v12, v11, v8
	v_lshlrev_b32_e32 v11, v11, v12
	v_mul_f16_sdwa v9, v59, v9 dst_sel:DWORD dst_unused:UNUSED_PAD src0_sel:WORD_1 src1_sel:DWORD
	v_cmp_ne_u32_e32 vcc, v11, v8
	v_fma_f16 v9, v59, v15, -v9
	v_cndmask_b32_e64 v8, 0, 1, vcc
	v_add_u32_e32 v10, 0xfffffc10, v10
	v_cvt_f32_f16_e32 v9, v9
	v_or_b32_e32 v8, v12, v8
	v_lshl_or_b32 v11, v10, 12, v6
	v_cmp_gt_i32_e32 vcc, 1, v10
	v_cndmask_b32_e32 v8, v11, v8, vcc
	v_and_b32_e32 v11, 7, v8
	v_cmp_lt_i32_e32 vcc, 5, v11
	v_cmp_eq_u32_e64 s[2:3], 3, v11
	v_lshrrev_b32_e32 v11, 2, v8
	v_cvt_f64_f32_e32 v[8:9], v9
	s_or_b64 vcc, s[2:3], vcc
	v_addc_co_u32_e32 v11, vcc, 0, v11, vcc
	v_mul_f64 v[8:9], v[8:9], s[12:13]
	v_cmp_gt_i32_e32 vcc, 31, v10
	v_cndmask_b32_e32 v11, v2, v11, vcc
	v_cmp_ne_u32_e32 vcc, 0, v6
	v_cndmask_b32_e64 v6, 0, 1, vcc
	v_lshl_or_b32 v6, v6, 9, v2
	v_cmp_eq_u32_e32 vcc, s14, v10
	v_cndmask_b32_e32 v6, v11, v6, vcc
	v_lshrrev_b32_e32 v7, 16, v7
	v_and_or_b32 v12, v7, s15, v6
	v_and_or_b32 v6, v9, s11, v8
	v_cmp_ne_u32_e32 vcc, 0, v6
	v_cndmask_b32_e64 v6, 0, 1, vcc
	v_lshrrev_b32_e32 v7, 8, v9
	v_and_or_b32 v8, v7, s10, v6
	v_bfe_u32 v7, v9, 20, 11
	v_sub_u32_e32 v10, 0x3f1, v7
	v_or_b32_e32 v6, 0x1000, v8
	v_med3_i32 v10, v10, 0, 13
	v_lshrrev_b32_e32 v11, v10, v6
	v_lshlrev_b32_e32 v10, v10, v11
	v_cmp_ne_u32_e32 vcc, v10, v6
	v_cndmask_b32_e64 v6, 0, 1, vcc
	v_add_u32_e32 v13, 0xfffffc10, v7
	v_or_b32_e32 v6, v11, v6
	v_lshl_or_b32 v7, v13, 12, v8
	v_cmp_gt_i32_e32 vcc, 1, v13
	v_cndmask_b32_e32 v6, v7, v6, vcc
	v_and_b32_e32 v7, 7, v6
	v_cmp_lt_i32_e32 vcc, 5, v7
	v_cmp_eq_u32_e64 s[2:3], 3, v7
	v_lshrrev_b32_e32 v10, 2, v6
	ds_read2_b32 v[6:7], v14 offset0:188 offset1:244
	s_or_b64 vcc, s[2:3], vcc
	v_addc_co_u32_e32 v10, vcc, 0, v10, vcc
	v_cmp_gt_i32_e32 vcc, 31, v13
	s_waitcnt lgkmcnt(0)
	v_lshrrev_b32_e32 v15, 16, v6
	v_cndmask_b32_e32 v14, v2, v10, vcc
	v_mul_f16_sdwa v10, v58, v15 dst_sel:DWORD dst_unused:UNUSED_PAD src0_sel:WORD_1 src1_sel:DWORD
	v_fma_f16 v10, v58, v6, v10
	v_cvt_f32_f16_e32 v10, v10
	v_cmp_ne_u32_e32 vcc, 0, v8
	v_cndmask_b32_e64 v8, 0, 1, vcc
	v_lshl_or_b32 v8, v8, 9, v2
	v_cvt_f64_f32_e32 v[10:11], v10
	v_cmp_eq_u32_e32 vcc, s14, v13
	v_cndmask_b32_e32 v8, v14, v8, vcc
	v_lshrrev_b32_e32 v9, 16, v9
	v_and_or_b32 v13, v9, s15, v8
	v_mul_f64 v[8:9], v[10:11], s[12:13]
	v_add_co_u32_e32 v4, vcc, s4, v4
	v_and_b32_e32 v10, 0xffff, v12
	v_addc_co_u32_e32 v5, vcc, v5, v3, vcc
	v_lshl_or_b32 v10, v13, 16, v10
	global_store_dword v[4:5], v10, off
	v_and_or_b32 v8, v9, s11, v8
	v_cmp_ne_u32_e32 vcc, 0, v8
	v_cndmask_b32_e64 v8, 0, 1, vcc
	v_lshrrev_b32_e32 v10, 8, v9
	v_bfe_u32 v11, v9, 20, 11
	v_and_or_b32 v8, v10, s10, v8
	v_sub_u32_e32 v12, 0x3f1, v11
	v_or_b32_e32 v10, 0x1000, v8
	v_med3_i32 v12, v12, 0, 13
	v_lshrrev_b32_e32 v13, v12, v10
	v_lshlrev_b32_e32 v12, v12, v13
	v_mul_f16_sdwa v6, v58, v6 dst_sel:DWORD dst_unused:UNUSED_PAD src0_sel:WORD_1 src1_sel:DWORD
	v_cmp_ne_u32_e32 vcc, v12, v10
	v_fma_f16 v6, v58, v15, -v6
	v_cndmask_b32_e64 v10, 0, 1, vcc
	v_add_u32_e32 v12, 0xfffffc10, v11
	v_cvt_f32_f16_e32 v6, v6
	v_or_b32_e32 v10, v13, v10
	v_lshl_or_b32 v11, v12, 12, v8
	v_cmp_gt_i32_e32 vcc, 1, v12
	v_cndmask_b32_e32 v10, v11, v10, vcc
	v_and_b32_e32 v11, 7, v10
	v_cmp_lt_i32_e32 vcc, 5, v11
	v_cmp_eq_u32_e64 s[2:3], 3, v11
	v_lshrrev_b32_e32 v13, 2, v10
	v_cvt_f64_f32_e32 v[10:11], v6
	s_or_b64 vcc, s[2:3], vcc
	v_addc_co_u32_e32 v6, vcc, 0, v13, vcc
	v_mul_f64 v[10:11], v[10:11], s[12:13]
	v_cmp_gt_i32_e32 vcc, 31, v12
	v_cndmask_b32_e32 v6, v2, v6, vcc
	v_cmp_ne_u32_e32 vcc, 0, v8
	v_cndmask_b32_e64 v8, 0, 1, vcc
	v_lshl_or_b32 v8, v8, 9, v2
	v_cmp_eq_u32_e32 vcc, s14, v12
	v_cndmask_b32_e32 v6, v6, v8, vcc
	v_lshrrev_b32_e32 v8, 16, v9
	v_and_or_b32 v6, v8, s15, v6
	v_and_or_b32 v8, v11, s11, v10
	v_cmp_ne_u32_e32 vcc, 0, v8
	v_cndmask_b32_e64 v8, 0, 1, vcc
	v_lshrrev_b32_e32 v9, 8, v11
	v_bfe_u32 v10, v11, 20, 11
	v_and_or_b32 v8, v9, s10, v8
	v_sub_u32_e32 v12, 0x3f1, v10
	v_or_b32_e32 v9, 0x1000, v8
	v_med3_i32 v12, v12, 0, 13
	v_lshrrev_b32_e32 v13, v12, v9
	v_lshlrev_b32_e32 v12, v12, v13
	v_cmp_ne_u32_e32 vcc, v12, v9
	v_cndmask_b32_e64 v9, 0, 1, vcc
	v_add_u32_e32 v10, 0xfffffc10, v10
	v_or_b32_e32 v9, v13, v9
	v_lshl_or_b32 v12, v10, 12, v8
	v_cmp_gt_i32_e32 vcc, 1, v10
	v_cndmask_b32_e32 v9, v12, v9, vcc
	v_and_b32_e32 v12, 7, v9
	v_cmp_lt_i32_e32 vcc, 5, v12
	v_cmp_eq_u32_e64 s[2:3], 3, v12
	v_lshrrev_b32_e32 v9, 2, v9
	s_or_b64 vcc, s[2:3], vcc
	v_addc_co_u32_e32 v9, vcc, 0, v9, vcc
	v_cmp_gt_i32_e32 vcc, 31, v10
	v_lshrrev_b32_e32 v13, 16, v0
	v_cndmask_b32_e32 v12, v2, v9, vcc
	v_mul_f16_sdwa v9, v57, v13 dst_sel:DWORD dst_unused:UNUSED_PAD src0_sel:WORD_1 src1_sel:DWORD
	v_fma_f16 v9, v57, v0, v9
	v_cvt_f32_f16_e32 v9, v9
	v_cmp_ne_u32_e32 vcc, 0, v8
	v_cndmask_b32_e64 v8, 0, 1, vcc
	v_lshl_or_b32 v14, v8, 9, v2
	v_cvt_f64_f32_e32 v[8:9], v9
	v_cmp_eq_u32_e32 vcc, s14, v10
	v_cndmask_b32_e32 v10, v12, v14, vcc
	v_lshrrev_b32_e32 v11, 16, v11
	v_mul_f64 v[8:9], v[8:9], s[12:13]
	v_and_or_b32 v10, v11, s15, v10
	v_and_b32_e32 v6, 0xffff, v6
	v_add_co_u32_e32 v4, vcc, s6, v4
	v_lshl_or_b32 v6, v10, 16, v6
	v_addc_co_u32_e32 v5, vcc, v5, v1, vcc
	global_store_dword v[4:5], v6, off
	v_and_or_b32 v6, v9, s11, v8
	v_cmp_ne_u32_e32 vcc, 0, v6
	v_cndmask_b32_e64 v6, 0, 1, vcc
	v_lshrrev_b32_e32 v8, 8, v9
	v_bfe_u32 v10, v9, 20, 11
	v_and_or_b32 v6, v8, s10, v6
	v_sub_u32_e32 v11, 0x3f1, v10
	v_or_b32_e32 v8, 0x1000, v6
	v_med3_i32 v11, v11, 0, 13
	v_lshrrev_b32_e32 v12, v11, v8
	v_lshlrev_b32_e32 v11, v11, v12
	v_cmp_ne_u32_e32 vcc, v11, v8
	v_mul_f16_sdwa v0, v57, v0 dst_sel:DWORD dst_unused:UNUSED_PAD src0_sel:WORD_1 src1_sel:DWORD
	v_cndmask_b32_e64 v8, 0, 1, vcc
	v_fma_f16 v0, v57, v13, -v0
	v_or_b32_e32 v8, v12, v8
	v_add_u32_e32 v12, 0xfffffc10, v10
	v_cvt_f32_f16_e32 v0, v0
	v_lshl_or_b32 v10, v12, 12, v6
	v_cmp_gt_i32_e32 vcc, 1, v12
	v_cndmask_b32_e32 v8, v10, v8, vcc
	v_and_b32_e32 v10, 7, v8
	v_cmp_lt_i32_e32 vcc, 5, v10
	v_cmp_eq_u32_e64 s[2:3], 3, v10
	v_cvt_f64_f32_e32 v[10:11], v0
	v_lshrrev_b32_e32 v8, 2, v8
	s_or_b64 vcc, s[2:3], vcc
	v_addc_co_u32_e32 v0, vcc, 0, v8, vcc
	v_mul_f64 v[10:11], v[10:11], s[12:13]
	v_cmp_gt_i32_e32 vcc, 31, v12
	v_cndmask_b32_e32 v0, v2, v0, vcc
	v_cmp_ne_u32_e32 vcc, 0, v6
	v_cndmask_b32_e64 v6, 0, 1, vcc
	v_lshl_or_b32 v6, v6, 9, v2
	v_cmp_eq_u32_e32 vcc, s14, v12
	v_cndmask_b32_e32 v0, v0, v6, vcc
	v_lshrrev_b32_e32 v6, 16, v9
	v_and_or_b32 v0, v6, s15, v0
	v_and_or_b32 v6, v11, s11, v10
	v_cmp_ne_u32_e32 vcc, 0, v6
	v_cndmask_b32_e64 v6, 0, 1, vcc
	v_lshrrev_b32_e32 v8, 8, v11
	v_bfe_u32 v9, v11, 20, 11
	v_and_or_b32 v6, v8, s10, v6
	v_sub_u32_e32 v10, 0x3f1, v9
	v_or_b32_e32 v8, 0x1000, v6
	v_med3_i32 v10, v10, 0, 13
	v_lshrrev_b32_e32 v12, v10, v8
	v_lshlrev_b32_e32 v10, v10, v12
	v_cmp_ne_u32_e32 vcc, v10, v8
	v_cndmask_b32_e64 v8, 0, 1, vcc
	v_add_u32_e32 v10, 0xfffffc10, v9
	v_or_b32_e32 v8, v12, v8
	v_lshl_or_b32 v9, v10, 12, v6
	v_cmp_gt_i32_e32 vcc, 1, v10
	v_cndmask_b32_e32 v8, v9, v8, vcc
	v_and_b32_e32 v9, 7, v8
	v_cmp_lt_i32_e32 vcc, 5, v9
	v_cmp_eq_u32_e64 s[2:3], 3, v9
	v_lshrrev_b32_e32 v8, 2, v8
	s_or_b64 vcc, s[2:3], vcc
	v_addc_co_u32_e32 v8, vcc, 0, v8, vcc
	v_cmp_gt_i32_e32 vcc, 31, v10
	v_lshrrev_b32_e32 v13, 16, v7
	v_cndmask_b32_e32 v12, v2, v8, vcc
	v_mul_f16_sdwa v8, v56, v13 dst_sel:DWORD dst_unused:UNUSED_PAD src0_sel:WORD_1 src1_sel:DWORD
	v_fma_f16 v8, v56, v7, v8
	v_cvt_f32_f16_e32 v8, v8
	v_cmp_ne_u32_e32 vcc, 0, v6
	v_cndmask_b32_e64 v6, 0, 1, vcc
	v_lshl_or_b32 v6, v6, 9, v2
	v_cvt_f64_f32_e32 v[8:9], v8
	v_cmp_eq_u32_e32 vcc, s14, v10
	v_cndmask_b32_e32 v6, v12, v6, vcc
	v_lshrrev_b32_e32 v10, 16, v11
	v_mul_f64 v[8:9], v[8:9], s[12:13]
	v_and_or_b32 v6, v10, s15, v6
	v_and_b32_e32 v0, 0xffff, v0
	v_add_co_u32_e32 v4, vcc, s4, v4
	v_lshl_or_b32 v0, v6, 16, v0
	v_addc_co_u32_e32 v5, vcc, v5, v3, vcc
	global_store_dword v[4:5], v0, off
	v_and_or_b32 v0, v9, s11, v8
	v_cmp_ne_u32_e32 vcc, 0, v0
	v_cndmask_b32_e64 v0, 0, 1, vcc
	v_lshrrev_b32_e32 v3, 8, v9
	v_bfe_u32 v6, v9, 20, 11
	v_and_or_b32 v0, v3, s10, v0
	v_sub_u32_e32 v8, 0x3f1, v6
	v_or_b32_e32 v3, 0x1000, v0
	v_med3_i32 v8, v8, 0, 13
	v_lshrrev_b32_e32 v10, v8, v3
	v_lshlrev_b32_e32 v8, v8, v10
	v_mul_f16_sdwa v7, v56, v7 dst_sel:DWORD dst_unused:UNUSED_PAD src0_sel:WORD_1 src1_sel:DWORD
	v_cmp_ne_u32_e32 vcc, v8, v3
	v_fma_f16 v7, v56, v13, -v7
	v_cndmask_b32_e64 v3, 0, 1, vcc
	v_add_u32_e32 v8, 0xfffffc10, v6
	v_cvt_f32_f16_e32 v7, v7
	v_or_b32_e32 v3, v10, v3
	v_lshl_or_b32 v6, v8, 12, v0
	v_cmp_gt_i32_e32 vcc, 1, v8
	v_cndmask_b32_e32 v3, v6, v3, vcc
	v_and_b32_e32 v6, 7, v3
	v_cmp_lt_i32_e32 vcc, 5, v6
	v_cmp_eq_u32_e64 s[2:3], 3, v6
	v_cvt_f64_f32_e32 v[6:7], v7
	v_lshrrev_b32_e32 v3, 2, v3
	s_or_b64 vcc, s[2:3], vcc
	v_addc_co_u32_e32 v3, vcc, 0, v3, vcc
	v_mul_f64 v[6:7], v[6:7], s[12:13]
	v_cmp_gt_i32_e32 vcc, 31, v8
	v_cndmask_b32_e32 v3, v2, v3, vcc
	v_cmp_ne_u32_e32 vcc, 0, v0
	v_cndmask_b32_e64 v0, 0, 1, vcc
	v_lshl_or_b32 v0, v0, 9, v2
	v_cmp_eq_u32_e32 vcc, s14, v8
	v_cndmask_b32_e32 v0, v3, v0, vcc
	v_lshrrev_b32_e32 v3, 16, v9
	v_and_or_b32 v0, v3, s15, v0
	v_and_or_b32 v3, v7, s11, v6
	v_cmp_ne_u32_e32 vcc, 0, v3
	v_cndmask_b32_e64 v3, 0, 1, vcc
	v_lshrrev_b32_e32 v6, 8, v7
	v_bfe_u32 v8, v7, 20, 11
	v_and_or_b32 v3, v6, s10, v3
	v_sub_u32_e32 v9, 0x3f1, v8
	v_or_b32_e32 v6, 0x1000, v3
	v_med3_i32 v9, v9, 0, 13
	v_lshrrev_b32_e32 v10, v9, v6
	v_lshlrev_b32_e32 v9, v9, v10
	v_cmp_ne_u32_e32 vcc, v9, v6
	v_cndmask_b32_e64 v6, 0, 1, vcc
	v_add_u32_e32 v8, 0xfffffc10, v8
	v_or_b32_e32 v6, v10, v6
	v_lshl_or_b32 v9, v8, 12, v3
	v_cmp_gt_i32_e32 vcc, 1, v8
	v_cndmask_b32_e32 v6, v9, v6, vcc
	v_and_b32_e32 v9, 7, v6
	v_cmp_lt_i32_e32 vcc, 5, v9
	v_cmp_eq_u32_e64 s[2:3], 3, v9
	v_lshrrev_b32_e32 v6, 2, v6
	s_or_b64 vcc, s[2:3], vcc
	v_addc_co_u32_e32 v6, vcc, 0, v6, vcc
	v_cmp_gt_i32_e32 vcc, 31, v8
	v_cndmask_b32_e32 v6, v2, v6, vcc
	v_cmp_ne_u32_e32 vcc, 0, v3
	v_cndmask_b32_e64 v3, 0, 1, vcc
	v_lshl_or_b32 v3, v3, 9, v2
	v_cmp_eq_u32_e32 vcc, s14, v8
	v_cndmask_b32_e32 v3, v6, v3, vcc
	v_lshrrev_b32_e32 v6, 16, v7
	v_and_or_b32 v3, v6, s15, v3
	v_and_b32_e32 v0, 0xffff, v0
	v_lshl_or_b32 v3, v3, 16, v0
	v_add_co_u32_e32 v0, vcc, s6, v4
	v_addc_co_u32_e32 v1, vcc, v5, v1, vcc
	global_store_dword v[0:1], v3, off
	s_and_b64 exec, exec, s[0:1]
	s_cbranch_execz .LBB0_39
; %bb.38:
	global_load_dword v3, v[24:25], off offset:1568
	ds_read_b32 v4, v55 offset:1568
	ds_read_b32 v7, v55 offset:3248
	v_mov_b32_e32 v8, s5
	v_add_co_u32_e32 v0, vcc, s4, v0
	s_waitcnt lgkmcnt(1)
	v_lshrrev_b32_e32 v5, 16, v4
	v_addc_co_u32_e32 v1, vcc, v1, v8, vcc
	s_waitcnt vmcnt(0)
	v_mul_f16_sdwa v6, v5, v3 dst_sel:DWORD dst_unused:UNUSED_PAD src0_sel:DWORD src1_sel:WORD_1
	v_fma_f16 v6, v4, v3, v6
	v_mul_f16_sdwa v4, v4, v3 dst_sel:DWORD dst_unused:UNUSED_PAD src0_sel:DWORD src1_sel:WORD_1
	v_cvt_f32_f16_e32 v6, v6
	v_fma_f16 v3, v3, v5, -v4
	v_cvt_f32_f16_e32 v5, v3
	v_cvt_f64_f32_e32 v[3:4], v6
	v_cvt_f64_f32_e32 v[5:6], v5
	v_mul_f64 v[3:4], v[3:4], s[12:13]
	v_mul_f64 v[5:6], v[5:6], s[12:13]
	v_and_or_b32 v3, v4, s11, v3
	v_cmp_ne_u32_e32 vcc, 0, v3
	v_and_or_b32 v5, v6, s11, v5
	v_lshrrev_b32_e32 v8, 8, v4
	v_bfe_u32 v9, v4, 20, 11
	v_cndmask_b32_e64 v3, 0, 1, vcc
	v_cmp_ne_u32_e32 vcc, 0, v5
	v_lshrrev_b32_e32 v10, 8, v6
	v_bfe_u32 v11, v6, 20, 11
	v_sub_u32_e32 v12, 0x3f1, v9
	v_cndmask_b32_e64 v5, 0, 1, vcc
	v_and_or_b32 v3, v8, s10, v3
	v_sub_u32_e32 v13, 0x3f1, v11
	v_med3_i32 v8, v12, 0, 13
	v_and_or_b32 v5, v10, s10, v5
	v_or_b32_e32 v12, 0x1000, v3
	v_add_u32_e32 v9, 0xfffffc10, v9
	v_med3_i32 v10, v13, 0, 13
	v_cmp_ne_u32_e32 vcc, 0, v3
	v_or_b32_e32 v14, 0x1000, v5
	v_lshrrev_b32_e32 v16, v8, v12
	v_add_u32_e32 v11, 0xfffffc10, v11
	v_lshl_or_b32 v13, v9, 12, v3
	v_cndmask_b32_e64 v3, 0, 1, vcc
	v_cmp_ne_u32_e32 vcc, 0, v5
	v_lshrrev_b32_e32 v17, v10, v14
	v_lshlrev_b32_e32 v8, v8, v16
	v_lshl_or_b32 v15, v11, 12, v5
	v_cndmask_b32_e64 v5, 0, 1, vcc
	v_lshlrev_b32_e32 v10, v10, v17
	v_cmp_ne_u32_e32 vcc, v8, v12
	v_cndmask_b32_e64 v8, 0, 1, vcc
	v_cmp_ne_u32_e32 vcc, v10, v14
	v_cndmask_b32_e64 v10, 0, 1, vcc
	v_or_b32_e32 v8, v16, v8
	v_cmp_gt_i32_e32 vcc, 1, v9
	v_cndmask_b32_e32 v8, v13, v8, vcc
	v_or_b32_e32 v10, v17, v10
	v_cmp_gt_i32_e32 vcc, 1, v11
	v_and_b32_e32 v12, 7, v8
	v_cndmask_b32_e32 v10, v15, v10, vcc
	v_cmp_lt_i32_e32 vcc, 5, v12
	v_cmp_eq_u32_e64 s[0:1], 3, v12
	v_lshrrev_b32_e32 v8, 2, v8
	v_and_b32_e32 v13, 7, v10
	s_or_b64 vcc, s[0:1], vcc
	v_cmp_lt_i32_e64 s[2:3], 5, v13
	v_cmp_eq_u32_e64 s[4:5], 3, v13
	v_addc_co_u32_e32 v8, vcc, 0, v8, vcc
	v_lshrrev_b32_e32 v10, 2, v10
	s_or_b64 vcc, s[4:5], s[2:3]
	v_addc_co_u32_e32 v10, vcc, 0, v10, vcc
	v_cmp_gt_i32_e32 vcc, 31, v9
	v_cndmask_b32_e32 v8, v2, v8, vcc
	v_cmp_gt_i32_e32 vcc, 31, v11
	v_lshl_or_b32 v3, v3, 9, v2
	v_cndmask_b32_e32 v10, v2, v10, vcc
	v_cmp_eq_u32_e32 vcc, s14, v9
	v_lshrrev_b32_e32 v4, 16, v4
	v_lshl_or_b32 v5, v5, 9, v2
	v_cndmask_b32_e32 v3, v8, v3, vcc
	v_cmp_eq_u32_e32 vcc, s14, v11
	v_lshrrev_b32_e32 v6, 16, v6
	v_cndmask_b32_e32 v5, v10, v5, vcc
	v_and_or_b32 v3, v4, s15, v3
	v_and_or_b32 v4, v6, s15, v5
	v_and_b32_e32 v3, 0xffff, v3
	v_lshl_or_b32 v3, v4, 16, v3
	global_store_dword v[0:1], v3, off
	global_load_dword v3, v[24:25], off offset:3248
	s_waitcnt lgkmcnt(0)
	v_lshrrev_b32_e32 v4, 16, v7
	s_waitcnt vmcnt(0)
	v_mul_f16_sdwa v5, v4, v3 dst_sel:DWORD dst_unused:UNUSED_PAD src0_sel:DWORD src1_sel:WORD_1
	v_fma_f16 v5, v7, v3, v5
	v_mul_f16_sdwa v6, v7, v3 dst_sel:DWORD dst_unused:UNUSED_PAD src0_sel:DWORD src1_sel:WORD_1
	v_cvt_f32_f16_e32 v5, v5
	v_fma_f16 v3, v3, v4, -v6
	v_cvt_f32_f16_e32 v6, v3
	v_mov_b32_e32 v7, s7
	v_cvt_f64_f32_e32 v[3:4], v5
	v_cvt_f64_f32_e32 v[5:6], v6
	v_mul_f64 v[3:4], v[3:4], s[12:13]
	v_mul_f64 v[5:6], v[5:6], s[12:13]
	v_and_or_b32 v3, v4, s11, v3
	v_cmp_ne_u32_e32 vcc, 0, v3
	v_and_or_b32 v5, v6, s11, v5
	v_lshrrev_b32_e32 v8, 8, v4
	v_bfe_u32 v9, v4, 20, 11
	v_cndmask_b32_e64 v3, 0, 1, vcc
	v_cmp_ne_u32_e32 vcc, 0, v5
	v_lshrrev_b32_e32 v10, 8, v6
	v_bfe_u32 v11, v6, 20, 11
	v_sub_u32_e32 v12, 0x3f1, v9
	v_cndmask_b32_e64 v5, 0, 1, vcc
	v_and_or_b32 v3, v8, s10, v3
	v_sub_u32_e32 v13, 0x3f1, v11
	v_med3_i32 v8, v12, 0, 13
	v_and_or_b32 v5, v10, s10, v5
	v_or_b32_e32 v12, 0x1000, v3
	v_add_u32_e32 v9, 0xfffffc10, v9
	v_med3_i32 v10, v13, 0, 13
	v_cmp_ne_u32_e32 vcc, 0, v3
	v_or_b32_e32 v14, 0x1000, v5
	v_lshrrev_b32_e32 v16, v8, v12
	v_add_u32_e32 v11, 0xfffffc10, v11
	v_lshl_or_b32 v13, v9, 12, v3
	v_cndmask_b32_e64 v3, 0, 1, vcc
	v_cmp_ne_u32_e32 vcc, 0, v5
	v_lshrrev_b32_e32 v17, v10, v14
	v_lshlrev_b32_e32 v8, v8, v16
	v_lshl_or_b32 v15, v11, 12, v5
	v_cndmask_b32_e64 v5, 0, 1, vcc
	v_lshlrev_b32_e32 v10, v10, v17
	v_cmp_ne_u32_e32 vcc, v8, v12
	v_cndmask_b32_e64 v8, 0, 1, vcc
	v_cmp_ne_u32_e32 vcc, v10, v14
	v_cndmask_b32_e64 v10, 0, 1, vcc
	v_or_b32_e32 v8, v16, v8
	v_cmp_gt_i32_e32 vcc, 1, v9
	v_cndmask_b32_e32 v8, v13, v8, vcc
	v_or_b32_e32 v10, v17, v10
	v_cmp_gt_i32_e32 vcc, 1, v11
	v_and_b32_e32 v12, 7, v8
	v_cndmask_b32_e32 v10, v15, v10, vcc
	v_cmp_lt_i32_e32 vcc, 5, v12
	v_cmp_eq_u32_e64 s[0:1], 3, v12
	v_lshrrev_b32_e32 v8, 2, v8
	v_and_b32_e32 v13, 7, v10
	s_or_b64 vcc, s[0:1], vcc
	v_cmp_lt_i32_e64 s[2:3], 5, v13
	v_cmp_eq_u32_e64 s[4:5], 3, v13
	v_addc_co_u32_e32 v8, vcc, 0, v8, vcc
	v_lshrrev_b32_e32 v10, 2, v10
	s_or_b64 vcc, s[4:5], s[2:3]
	v_addc_co_u32_e32 v10, vcc, 0, v10, vcc
	v_cmp_gt_i32_e32 vcc, 31, v9
	v_cndmask_b32_e32 v8, v2, v8, vcc
	v_cmp_gt_i32_e32 vcc, 31, v11
	v_lshl_or_b32 v3, v3, 9, v2
	v_lshl_or_b32 v5, v5, 9, v2
	v_cndmask_b32_e32 v2, v2, v10, vcc
	v_cmp_eq_u32_e32 vcc, s14, v9
	v_lshrrev_b32_e32 v4, 16, v4
	v_cndmask_b32_e32 v3, v8, v3, vcc
	v_cmp_eq_u32_e32 vcc, s14, v11
	v_lshrrev_b32_e32 v6, 16, v6
	v_cndmask_b32_e32 v2, v2, v5, vcc
	v_and_or_b32 v3, v4, s15, v3
	v_and_or_b32 v2, v6, s15, v2
	v_and_b32_e32 v3, 0xffff, v3
	v_add_co_u32_e32 v0, vcc, s6, v0
	v_lshl_or_b32 v2, v2, 16, v3
	v_addc_co_u32_e32 v1, vcc, v1, v7, vcc
	global_store_dword v[0:1], v2, off
.LBB0_39:
	s_endpgm
	.section	.rodata,"a",@progbits
	.p2align	6, 0x0
	.amdhsa_kernel bluestein_single_back_len840_dim1_half_op_CI_CI
		.amdhsa_group_segment_fixed_size 3360
		.amdhsa_private_segment_fixed_size 0
		.amdhsa_kernarg_size 104
		.amdhsa_user_sgpr_count 6
		.amdhsa_user_sgpr_private_segment_buffer 1
		.amdhsa_user_sgpr_dispatch_ptr 0
		.amdhsa_user_sgpr_queue_ptr 0
		.amdhsa_user_sgpr_kernarg_segment_ptr 1
		.amdhsa_user_sgpr_dispatch_id 0
		.amdhsa_user_sgpr_flat_scratch_init 0
		.amdhsa_user_sgpr_private_segment_size 0
		.amdhsa_uses_dynamic_stack 0
		.amdhsa_system_sgpr_private_segment_wavefront_offset 0
		.amdhsa_system_sgpr_workgroup_id_x 1
		.amdhsa_system_sgpr_workgroup_id_y 0
		.amdhsa_system_sgpr_workgroup_id_z 0
		.amdhsa_system_sgpr_workgroup_info 0
		.amdhsa_system_vgpr_workitem_id 0
		.amdhsa_next_free_vgpr 155
		.amdhsa_next_free_sgpr 18
		.amdhsa_reserve_vcc 1
		.amdhsa_reserve_flat_scratch 0
		.amdhsa_float_round_mode_32 0
		.amdhsa_float_round_mode_16_64 0
		.amdhsa_float_denorm_mode_32 3
		.amdhsa_float_denorm_mode_16_64 3
		.amdhsa_dx10_clamp 1
		.amdhsa_ieee_mode 1
		.amdhsa_fp16_overflow 0
		.amdhsa_exception_fp_ieee_invalid_op 0
		.amdhsa_exception_fp_denorm_src 0
		.amdhsa_exception_fp_ieee_div_zero 0
		.amdhsa_exception_fp_ieee_overflow 0
		.amdhsa_exception_fp_ieee_underflow 0
		.amdhsa_exception_fp_ieee_inexact 0
		.amdhsa_exception_int_div_zero 0
	.end_amdhsa_kernel
	.text
.Lfunc_end0:
	.size	bluestein_single_back_len840_dim1_half_op_CI_CI, .Lfunc_end0-bluestein_single_back_len840_dim1_half_op_CI_CI
                                        ; -- End function
	.section	.AMDGPU.csdata,"",@progbits
; Kernel info:
; codeLenInByte = 26532
; NumSgprs: 22
; NumVgprs: 155
; ScratchSize: 0
; MemoryBound: 0
; FloatMode: 240
; IeeeMode: 1
; LDSByteSize: 3360 bytes/workgroup (compile time only)
; SGPRBlocks: 2
; VGPRBlocks: 38
; NumSGPRsForWavesPerEU: 22
; NumVGPRsForWavesPerEU: 155
; Occupancy: 1
; WaveLimiterHint : 1
; COMPUTE_PGM_RSRC2:SCRATCH_EN: 0
; COMPUTE_PGM_RSRC2:USER_SGPR: 6
; COMPUTE_PGM_RSRC2:TRAP_HANDLER: 0
; COMPUTE_PGM_RSRC2:TGID_X_EN: 1
; COMPUTE_PGM_RSRC2:TGID_Y_EN: 0
; COMPUTE_PGM_RSRC2:TGID_Z_EN: 0
; COMPUTE_PGM_RSRC2:TIDIG_COMP_CNT: 0
	.type	__hip_cuid_1ae9c0164ddc5961,@object ; @__hip_cuid_1ae9c0164ddc5961
	.section	.bss,"aw",@nobits
	.globl	__hip_cuid_1ae9c0164ddc5961
__hip_cuid_1ae9c0164ddc5961:
	.byte	0                               ; 0x0
	.size	__hip_cuid_1ae9c0164ddc5961, 1

	.ident	"AMD clang version 19.0.0git (https://github.com/RadeonOpenCompute/llvm-project roc-6.4.0 25133 c7fe45cf4b819c5991fe208aaa96edf142730f1d)"
	.section	".note.GNU-stack","",@progbits
	.addrsig
	.addrsig_sym __hip_cuid_1ae9c0164ddc5961
	.amdgpu_metadata
---
amdhsa.kernels:
  - .args:
      - .actual_access:  read_only
        .address_space:  global
        .offset:         0
        .size:           8
        .value_kind:     global_buffer
      - .actual_access:  read_only
        .address_space:  global
        .offset:         8
        .size:           8
        .value_kind:     global_buffer
      - .actual_access:  read_only
        .address_space:  global
        .offset:         16
        .size:           8
        .value_kind:     global_buffer
      - .actual_access:  read_only
        .address_space:  global
        .offset:         24
        .size:           8
        .value_kind:     global_buffer
      - .actual_access:  read_only
        .address_space:  global
        .offset:         32
        .size:           8
        .value_kind:     global_buffer
      - .offset:         40
        .size:           8
        .value_kind:     by_value
      - .address_space:  global
        .offset:         48
        .size:           8
        .value_kind:     global_buffer
      - .address_space:  global
        .offset:         56
        .size:           8
        .value_kind:     global_buffer
      - .address_space:  global
        .offset:         64
        .size:           8
        .value_kind:     global_buffer
      - .address_space:  global
        .offset:         72
        .size:           8
        .value_kind:     global_buffer
      - .offset:         80
        .size:           4
        .value_kind:     by_value
      - .address_space:  global
        .offset:         88
        .size:           8
        .value_kind:     global_buffer
      - .address_space:  global
        .offset:         96
        .size:           8
        .value_kind:     global_buffer
    .group_segment_fixed_size: 3360
    .kernarg_segment_align: 8
    .kernarg_segment_size: 104
    .language:       OpenCL C
    .language_version:
      - 2
      - 0
    .max_flat_workgroup_size: 56
    .name:           bluestein_single_back_len840_dim1_half_op_CI_CI
    .private_segment_fixed_size: 0
    .sgpr_count:     22
    .sgpr_spill_count: 0
    .symbol:         bluestein_single_back_len840_dim1_half_op_CI_CI.kd
    .uniform_work_group_size: 1
    .uses_dynamic_stack: false
    .vgpr_count:     155
    .vgpr_spill_count: 0
    .wavefront_size: 64
amdhsa.target:   amdgcn-amd-amdhsa--gfx906
amdhsa.version:
  - 1
  - 2
...

	.end_amdgpu_metadata
